;; amdgpu-corpus repo=ROCm/rocFFT kind=compiled arch=gfx1030 opt=O3
	.text
	.amdgcn_target "amdgcn-amd-amdhsa--gfx1030"
	.amdhsa_code_object_version 6
	.protected	fft_rtc_fwd_len2401_factors_7_7_7_7_wgs_49_tpt_49_halfLds_dp_op_CI_CI_unitstride_sbrr_dirReg ; -- Begin function fft_rtc_fwd_len2401_factors_7_7_7_7_wgs_49_tpt_49_halfLds_dp_op_CI_CI_unitstride_sbrr_dirReg
	.globl	fft_rtc_fwd_len2401_factors_7_7_7_7_wgs_49_tpt_49_halfLds_dp_op_CI_CI_unitstride_sbrr_dirReg
	.p2align	8
	.type	fft_rtc_fwd_len2401_factors_7_7_7_7_wgs_49_tpt_49_halfLds_dp_op_CI_CI_unitstride_sbrr_dirReg,@function
fft_rtc_fwd_len2401_factors_7_7_7_7_wgs_49_tpt_49_halfLds_dp_op_CI_CI_unitstride_sbrr_dirReg: ; @fft_rtc_fwd_len2401_factors_7_7_7_7_wgs_49_tpt_49_halfLds_dp_op_CI_CI_unitstride_sbrr_dirReg
; %bb.0:
	s_clause 0x2
	s_load_dwordx4 s[12:15], s[4:5], 0x0
	s_load_dwordx4 s[8:11], s[4:5], 0x58
	;; [unrolled: 1-line block ×3, first 2 shown]
	v_mul_u32_u24_e32 v2, 0x53a, v0
	v_mov_b32_e32 v1, 0
	s_mov_b64 s[30:31], s[2:3]
	s_mov_b64 s[28:29], s[0:1]
	v_mov_b32_e32 v4, 0
	v_add_nc_u32_sdwa v6, s6, v2 dst_sel:DWORD dst_unused:UNUSED_PAD src0_sel:DWORD src1_sel:WORD_1
	v_mov_b32_e32 v7, v1
	v_mov_b32_e32 v5, 0
	s_add_u32 s28, s28, s7
	s_addc_u32 s29, s29, 0
	s_waitcnt lgkmcnt(0)
	v_cmp_lt_u64_e64 s0, s[14:15], 2
	s_and_b32 vcc_lo, exec_lo, s0
	s_cbranch_vccnz .LBB0_8
; %bb.1:
	s_load_dwordx2 s[0:1], s[4:5], 0x10
	v_mov_b32_e32 v4, 0
	v_mov_b32_e32 v5, 0
	s_add_u32 s2, s18, 8
	s_addc_u32 s3, s19, 0
	s_add_u32 s6, s16, 8
	s_addc_u32 s7, s17, 0
	v_mov_b32_e32 v199, v5
	v_mov_b32_e32 v198, v4
	s_mov_b64 s[22:23], 1
	s_waitcnt lgkmcnt(0)
	s_add_u32 s20, s0, 8
	s_addc_u32 s21, s1, 0
.LBB0_2:                                ; =>This Inner Loop Header: Depth=1
	s_load_dwordx2 s[24:25], s[20:21], 0x0
                                        ; implicit-def: $vgpr200_vgpr201
	s_mov_b32 s0, exec_lo
	s_waitcnt lgkmcnt(0)
	v_or_b32_e32 v2, s25, v7
	v_cmpx_ne_u64_e32 0, v[1:2]
	s_xor_b32 s1, exec_lo, s0
	s_cbranch_execz .LBB0_4
; %bb.3:                                ;   in Loop: Header=BB0_2 Depth=1
	v_cvt_f32_u32_e32 v2, s24
	v_cvt_f32_u32_e32 v3, s25
	s_sub_u32 s0, 0, s24
	s_subb_u32 s26, 0, s25
	v_fmac_f32_e32 v2, 0x4f800000, v3
	v_rcp_f32_e32 v2, v2
	v_mul_f32_e32 v2, 0x5f7ffffc, v2
	v_mul_f32_e32 v3, 0x2f800000, v2
	v_trunc_f32_e32 v3, v3
	v_fmac_f32_e32 v2, 0xcf800000, v3
	v_cvt_u32_f32_e32 v3, v3
	v_cvt_u32_f32_e32 v2, v2
	v_mul_lo_u32 v8, s0, v3
	v_mul_hi_u32 v9, s0, v2
	v_mul_lo_u32 v10, s26, v2
	v_add_nc_u32_e32 v8, v9, v8
	v_mul_lo_u32 v9, s0, v2
	v_add_nc_u32_e32 v8, v8, v10
	v_mul_hi_u32 v10, v2, v9
	v_mul_lo_u32 v11, v2, v8
	v_mul_hi_u32 v12, v2, v8
	v_mul_hi_u32 v13, v3, v9
	v_mul_lo_u32 v9, v3, v9
	v_mul_hi_u32 v14, v3, v8
	v_mul_lo_u32 v8, v3, v8
	v_add_co_u32 v10, vcc_lo, v10, v11
	v_add_co_ci_u32_e32 v11, vcc_lo, 0, v12, vcc_lo
	v_add_co_u32 v9, vcc_lo, v10, v9
	v_add_co_ci_u32_e32 v9, vcc_lo, v11, v13, vcc_lo
	v_add_co_ci_u32_e32 v10, vcc_lo, 0, v14, vcc_lo
	v_add_co_u32 v8, vcc_lo, v9, v8
	v_add_co_ci_u32_e32 v9, vcc_lo, 0, v10, vcc_lo
	v_add_co_u32 v2, vcc_lo, v2, v8
	v_add_co_ci_u32_e32 v3, vcc_lo, v3, v9, vcc_lo
	v_mul_hi_u32 v8, s0, v2
	v_mul_lo_u32 v10, s26, v2
	v_mul_lo_u32 v9, s0, v3
	v_add_nc_u32_e32 v8, v8, v9
	v_mul_lo_u32 v9, s0, v2
	v_add_nc_u32_e32 v8, v8, v10
	v_mul_hi_u32 v10, v2, v9
	v_mul_lo_u32 v11, v2, v8
	v_mul_hi_u32 v12, v2, v8
	v_mul_hi_u32 v13, v3, v9
	v_mul_lo_u32 v9, v3, v9
	v_mul_hi_u32 v14, v3, v8
	v_mul_lo_u32 v8, v3, v8
	v_add_co_u32 v10, vcc_lo, v10, v11
	v_add_co_ci_u32_e32 v11, vcc_lo, 0, v12, vcc_lo
	v_add_co_u32 v9, vcc_lo, v10, v9
	v_add_co_ci_u32_e32 v9, vcc_lo, v11, v13, vcc_lo
	v_add_co_ci_u32_e32 v10, vcc_lo, 0, v14, vcc_lo
	v_add_co_u32 v8, vcc_lo, v9, v8
	v_add_co_ci_u32_e32 v9, vcc_lo, 0, v10, vcc_lo
	v_add_co_u32 v8, vcc_lo, v2, v8
	v_add_co_ci_u32_e32 v10, vcc_lo, v3, v9, vcc_lo
	v_mul_hi_u32 v12, v6, v8
	v_mad_u64_u32 v[8:9], null, v7, v8, 0
	v_mad_u64_u32 v[2:3], null, v6, v10, 0
	;; [unrolled: 1-line block ×3, first 2 shown]
	v_add_co_u32 v2, vcc_lo, v12, v2
	v_add_co_ci_u32_e32 v3, vcc_lo, 0, v3, vcc_lo
	v_add_co_u32 v2, vcc_lo, v2, v8
	v_add_co_ci_u32_e32 v2, vcc_lo, v3, v9, vcc_lo
	v_add_co_ci_u32_e32 v3, vcc_lo, 0, v11, vcc_lo
	v_add_co_u32 v8, vcc_lo, v2, v10
	v_add_co_ci_u32_e32 v9, vcc_lo, 0, v3, vcc_lo
	v_mul_lo_u32 v10, s25, v8
	v_mad_u64_u32 v[2:3], null, s24, v8, 0
	v_mul_lo_u32 v11, s24, v9
	v_sub_co_u32 v2, vcc_lo, v6, v2
	v_add3_u32 v3, v3, v11, v10
	v_sub_nc_u32_e32 v10, v7, v3
	v_subrev_co_ci_u32_e64 v10, s0, s25, v10, vcc_lo
	v_add_co_u32 v11, s0, v8, 2
	v_add_co_ci_u32_e64 v12, s0, 0, v9, s0
	v_sub_co_u32 v13, s0, v2, s24
	v_sub_co_ci_u32_e32 v3, vcc_lo, v7, v3, vcc_lo
	v_subrev_co_ci_u32_e64 v10, s0, 0, v10, s0
	v_cmp_le_u32_e32 vcc_lo, s24, v13
	v_cmp_eq_u32_e64 s0, s25, v3
	v_cndmask_b32_e64 v13, 0, -1, vcc_lo
	v_cmp_le_u32_e32 vcc_lo, s25, v10
	v_cndmask_b32_e64 v14, 0, -1, vcc_lo
	v_cmp_le_u32_e32 vcc_lo, s24, v2
	;; [unrolled: 2-line block ×3, first 2 shown]
	v_cndmask_b32_e64 v15, 0, -1, vcc_lo
	v_cmp_eq_u32_e32 vcc_lo, s25, v10
	v_cndmask_b32_e64 v2, v15, v2, s0
	v_cndmask_b32_e32 v10, v14, v13, vcc_lo
	v_add_co_u32 v13, vcc_lo, v8, 1
	v_add_co_ci_u32_e32 v14, vcc_lo, 0, v9, vcc_lo
	v_cmp_ne_u32_e32 vcc_lo, 0, v10
	v_cndmask_b32_e32 v3, v14, v12, vcc_lo
	v_cndmask_b32_e32 v10, v13, v11, vcc_lo
	v_cmp_ne_u32_e32 vcc_lo, 0, v2
	v_cndmask_b32_e32 v201, v9, v3, vcc_lo
	v_cndmask_b32_e32 v200, v8, v10, vcc_lo
.LBB0_4:                                ;   in Loop: Header=BB0_2 Depth=1
	s_andn2_saveexec_b32 s0, s1
	s_cbranch_execz .LBB0_6
; %bb.5:                                ;   in Loop: Header=BB0_2 Depth=1
	v_cvt_f32_u32_e32 v2, s24
	s_sub_i32 s1, 0, s24
	v_mov_b32_e32 v201, v1
	v_rcp_iflag_f32_e32 v2, v2
	v_mul_f32_e32 v2, 0x4f7ffffe, v2
	v_cvt_u32_f32_e32 v2, v2
	v_mul_lo_u32 v3, s1, v2
	v_mul_hi_u32 v3, v2, v3
	v_add_nc_u32_e32 v2, v2, v3
	v_mul_hi_u32 v2, v6, v2
	v_mul_lo_u32 v3, v2, s24
	v_add_nc_u32_e32 v8, 1, v2
	v_sub_nc_u32_e32 v3, v6, v3
	v_subrev_nc_u32_e32 v9, s24, v3
	v_cmp_le_u32_e32 vcc_lo, s24, v3
	v_cndmask_b32_e32 v3, v3, v9, vcc_lo
	v_cndmask_b32_e32 v2, v2, v8, vcc_lo
	v_cmp_le_u32_e32 vcc_lo, s24, v3
	v_add_nc_u32_e32 v8, 1, v2
	v_cndmask_b32_e32 v200, v2, v8, vcc_lo
.LBB0_6:                                ;   in Loop: Header=BB0_2 Depth=1
	s_or_b32 exec_lo, exec_lo, s0
	v_mul_lo_u32 v8, v201, s24
	v_mul_lo_u32 v9, v200, s25
	s_load_dwordx2 s[0:1], s[6:7], 0x0
	v_mad_u64_u32 v[2:3], null, v200, s24, 0
	s_load_dwordx2 s[24:25], s[2:3], 0x0
	s_add_u32 s22, s22, 1
	s_addc_u32 s23, s23, 0
	s_add_u32 s2, s2, 8
	s_addc_u32 s3, s3, 0
	s_add_u32 s6, s6, 8
	v_add3_u32 v3, v3, v9, v8
	v_sub_co_u32 v2, vcc_lo, v6, v2
	s_addc_u32 s7, s7, 0
	s_add_u32 s20, s20, 8
	v_sub_co_ci_u32_e32 v3, vcc_lo, v7, v3, vcc_lo
	s_addc_u32 s21, s21, 0
	s_waitcnt lgkmcnt(0)
	v_mul_lo_u32 v6, s0, v3
	v_mul_lo_u32 v7, s1, v2
	v_mad_u64_u32 v[4:5], null, s0, v2, v[4:5]
	v_mul_lo_u32 v3, s24, v3
	v_mul_lo_u32 v8, s25, v2
	v_mad_u64_u32 v[198:199], null, s24, v2, v[198:199]
	v_cmp_ge_u64_e64 s0, s[22:23], s[14:15]
	v_add3_u32 v5, v7, v5, v6
	v_add3_u32 v199, v8, v199, v3
	s_and_b32 vcc_lo, exec_lo, s0
	s_cbranch_vccnz .LBB0_9
; %bb.7:                                ;   in Loop: Header=BB0_2 Depth=1
	v_mov_b32_e32 v6, v200
	v_mov_b32_e32 v7, v201
	s_branch .LBB0_2
.LBB0_8:
	v_mov_b32_e32 v199, v5
	v_mov_b32_e32 v201, v7
	;; [unrolled: 1-line block ×4, first 2 shown]
.LBB0_9:
	s_load_dwordx2 s[0:1], s[4:5], 0x28
	v_mul_hi_u32 v1, 0x539782a, v0
	s_lshl_b64 s[2:3], s[14:15], 3
                                        ; implicit-def: $vgpr242
	s_add_u32 s24, s18, s2
	s_addc_u32 s25, s19, s3
	s_waitcnt lgkmcnt(0)
	v_cmp_gt_u64_e32 vcc_lo, s[0:1], v[200:201]
	v_cmp_le_u64_e64 s0, s[0:1], v[200:201]
	s_and_saveexec_b32 s1, s0
	s_xor_b32 s0, exec_lo, s1
; %bb.10:
	v_mul_u32_u24_e32 v1, 49, v1
                                        ; implicit-def: $vgpr4_vgpr5
	v_sub_nc_u32_e32 v242, v0, v1
                                        ; implicit-def: $vgpr1
                                        ; implicit-def: $vgpr0
; %bb.11:
	s_or_saveexec_b32 s1, s0
                                        ; implicit-def: $vgpr44_vgpr45
                                        ; implicit-def: $vgpr52_vgpr53
                                        ; implicit-def: $vgpr48_vgpr49
                                        ; implicit-def: $vgpr10_vgpr11
                                        ; implicit-def: $vgpr40_vgpr41
                                        ; implicit-def: $vgpr6_vgpr7
                                        ; implicit-def: $vgpr24_vgpr25
                                        ; implicit-def: $vgpr68_vgpr69
                                        ; implicit-def: $vgpr80_vgpr81
                                        ; implicit-def: $vgpr64_vgpr65
                                        ; implicit-def: $vgpr60_vgpr61
                                        ; implicit-def: $vgpr76_vgpr77
                                        ; implicit-def: $vgpr72_vgpr73
                                        ; implicit-def: $vgpr28_vgpr29
                                        ; implicit-def: $vgpr112_vgpr113
                                        ; implicit-def: $vgpr88_vgpr89
                                        ; implicit-def: $vgpr120_vgpr121
                                        ; implicit-def: $vgpr116_vgpr117
                                        ; implicit-def: $vgpr56_vgpr57
                                        ; implicit-def: $vgpr124_vgpr125
                                        ; implicit-def: $vgpr16_vgpr17
                                        ; implicit-def: $vgpr152_vgpr153
                                        ; implicit-def: $vgpr104_vgpr105
                                        ; implicit-def: $vgpr96_vgpr97
                                        ; implicit-def: $vgpr156_vgpr157
                                        ; implicit-def: $vgpr92_vgpr93
                                        ; implicit-def: $vgpr84_vgpr85
                                        ; implicit-def: $vgpr20_vgpr21
                                        ; implicit-def: $vgpr168_vgpr169
                                        ; implicit-def: $vgpr148_vgpr149
                                        ; implicit-def: $vgpr132_vgpr133
                                        ; implicit-def: $vgpr108_vgpr109
                                        ; implicit-def: $vgpr128_vgpr129
                                        ; implicit-def: $vgpr100_vgpr101
                                        ; implicit-def: $vgpr36_vgpr37
                                        ; implicit-def: $vgpr176_vgpr177
                                        ; implicit-def: $vgpr172_vgpr173
                                        ; implicit-def: $vgpr160_vgpr161
                                        ; implicit-def: $vgpr144_vgpr145
                                        ; implicit-def: $vgpr136_vgpr137
                                        ; implicit-def: $vgpr140_vgpr141
                                        ; implicit-def: $vgpr2_vgpr3
                                        ; implicit-def: $vgpr188_vgpr189
                                        ; implicit-def: $vgpr196_vgpr197
                                        ; implicit-def: $vgpr192_vgpr193
                                        ; implicit-def: $vgpr164_vgpr165
                                        ; implicit-def: $vgpr184_vgpr185
                                        ; implicit-def: $vgpr180_vgpr181
                                        ; implicit-def: $vgpr32_vgpr33
	s_xor_b32 exec_lo, exec_lo, s1
	s_cbranch_execz .LBB0_13
; %bb.12:
	s_add_u32 s2, s16, s2
	s_addc_u32 s3, s17, s3
	s_load_dwordx2 s[2:3], s[2:3], 0x0
	s_waitcnt lgkmcnt(0)
	v_mul_lo_u32 v6, s3, v200
	v_mul_lo_u32 v7, s2, v201
	v_mad_u64_u32 v[2:3], null, s2, v200, 0
	v_add3_u32 v3, v3, v7, v6
	v_mul_u32_u24_e32 v6, 49, v1
	v_lshlrev_b64 v[1:2], 4, v[2:3]
	v_lshlrev_b64 v[3:4], 4, v[4:5]
	v_sub_nc_u32_e32 v242, v0, v6
	v_add_co_u32 v0, s0, s8, v1
	v_add_co_ci_u32_e64 v1, s0, s9, v2, s0
	v_lshlrev_b32_e32 v2, 4, v242
	v_add_co_u32 v0, s0, v0, v3
	v_add_co_ci_u32_e64 v1, s0, v1, v4, s0
	v_add_co_u32 v4, s0, v0, v2
	v_add_co_ci_u32_e64 v5, s0, 0, v1, s0
	;; [unrolled: 2-line block ×11, first 2 shown]
	s_clause 0x5
	global_load_dwordx4 v[162:165], v[0:1], off offset:80
	global_load_dwordx4 v[134:137], v[8:9], off offset:1520
	;; [unrolled: 1-line block ×6, first 2 shown]
	v_add_co_u32 v0, s0, 0x7000, v4
	v_add_co_ci_u32_e64 v1, s0, 0, v5, s0
	v_add_co_u32 v24, s0, 0x800, v4
	v_add_co_ci_u32_e64 v25, s0, 0, v5, s0
	s_clause 0x3
	global_load_dwordx4 v[158:161], v[14:15], off offset:208
	global_load_dwordx4 v[82:85], v[2:3], off offset:1696
	;; [unrolled: 1-line block ×4, first 2 shown]
	v_add_co_u32 v2, s0, 0x4800, v4
	v_add_co_ci_u32_e64 v3, s0, 0, v5, s0
	v_add_co_u32 v38, s0, 0x8800, v4
	v_add_co_ci_u32_e64 v39, s0, 0, v5, s0
	;; [unrolled: 2-line block ×3, first 2 shown]
	s_clause 0x5
	global_load_dwordx4 v[130:133], v[14:15], off offset:992
	global_load_dwordx4 v[94:97], v[14:15], off offset:1776
	;; [unrolled: 1-line block ×6, first 2 shown]
	v_add_co_u32 v22, s0, 0x6000, v4
	v_add_co_ci_u32_e64 v23, s0, 0, v5, s0
	v_add_co_u32 v44, s0, 0x3800, v4
	v_add_co_ci_u32_e64 v45, s0, 0, v5, s0
	;; [unrolled: 2-line block ×3, first 2 shown]
	v_add_co_u32 v203, s0, 0x9000, v4
	s_clause 0x1
	global_load_dwordx4 v[102:105], v[0:1], off offset:1120
	global_load_dwordx4 v[86:89], v[0:1], off offset:1904
	v_add_co_ci_u32_e64 v204, s0, 0, v5, s0
	s_clause 0x1e
	global_load_dwordx4 v[26:29], v[24:25], off offset:1872
	global_load_dwordx4 v[154:157], v[2:3], off offset:384
	;; [unrolled: 1-line block ×8, first 2 shown]
	global_load_dwordx4 v[30:33], v[4:5], off
	global_load_dwordx4 v[0:3], v[4:5], off offset:784
	global_load_dwordx4 v[182:185], v[8:9], off offset:736
	;; [unrolled: 1-line block ×22, first 2 shown]
.LBB0_13:
	s_or_b32 exec_lo, exec_lo, s1
	s_waitcnt vmcnt(4)
	v_add_f64 v[204:205], v[194:195], v[182:183]
	v_add_f64 v[238:239], v[182:183], -v[194:195]
	v_add_f64 v[194:195], v[184:185], -v[196:197]
	v_add_f64 v[243:244], v[192:193], v[164:165]
	v_add_f64 v[226:227], v[192:193], -v[164:165]
	v_add_f64 v[192:193], v[186:187], v[178:179]
	v_add_f64 v[202:203], v[196:197], v[184:185]
	;; [unrolled: 1-line block ×4, first 2 shown]
	v_add_f64 v[236:237], v[178:179], -v[186:187]
	v_add_f64 v[180:181], v[180:181], -v[188:189]
	v_add_f64 v[212:213], v[174:175], v[138:139]
	v_add_f64 v[178:179], v[176:177], v[140:141]
	v_add_f64 v[138:139], v[138:139], -v[174:175]
	v_add_f64 v[214:215], v[140:141], -v[176:177]
	v_add_f64 v[216:217], v[170:171], v[134:135]
	v_add_f64 v[140:141], v[172:173], v[136:137]
	v_add_f64 v[134:135], v[134:135], -v[170:171]
	v_add_f64 v[218:219], v[136:137], -v[172:173]
	v_add_f64 v[220:221], v[158:159], v[142:143]
	v_add_f64 v[170:171], v[160:161], v[144:145]
	v_add_f64 v[12:13], v[158:159], -v[142:143]
	v_add_f64 v[222:223], v[160:161], -v[144:145]
	v_add_f64 v[224:225], v[146:147], v[126:127]
	v_add_f64 v[136:137], v[148:149], v[128:129]
	v_add_f64 v[126:127], v[126:127], -v[146:147]
	v_add_f64 v[230:231], v[128:129], -v[148:149]
	v_add_f64 v[232:233], v[130:131], v[106:107]
	v_add_f64 v[142:143], v[132:133], v[108:109]
	v_add_f64 v[108:109], v[132:133], -v[108:109]
	v_add_f64 v[132:133], v[130:131], -v[106:107]
	v_add_f64 v[106:107], v[166:167], v[98:99]
	v_add_f64 v[128:129], v[168:169], v[100:101]
	v_add_f64 v[100:101], v[100:101], -v[168:169]
	v_add_f64 v[130:131], v[98:99], -v[166:167]
	v_add_f64 v[98:99], v[102:103], v[90:91]
	v_add_f64 v[248:249], v[104:105], v[92:93]
	v_add_f64 v[146:147], v[90:91], -v[102:103]
	v_add_f64 v[90:91], v[92:93], -v[104:105]
	v_add_f64 v[102:103], v[94:95], v[154:155]
	v_add_f64 v[158:159], v[96:97], v[156:157]
	v_add_f64 v[184:185], v[94:95], -v[154:155]
	v_add_f64 v[94:95], v[96:97], -v[156:157]
	v_add_f64 v[92:93], v[150:151], v[82:83]
	v_add_f64 v[148:149], v[152:153], v[84:85]
	v_add_f64 v[250:251], v[82:83], -v[150:151]
	v_add_f64 v[82:83], v[84:85], -v[152:153]
	v_add_f64 v[84:85], v[86:87], v[54:55]
	v_add_f64 v[196:197], v[88:89], v[56:57]
	v_add_f64 v[156:157], v[54:55], -v[86:87]
	v_add_f64 v[54:55], v[56:57], -v[88:89]
	v_add_f64 v[96:97], v[118:119], v[114:115]
	v_add_f64 v[166:167], v[120:121], v[116:117]
	v_add_f64 v[88:89], v[120:121], -v[116:117]
	v_add_f64 v[160:161], v[118:119], -v[114:115]
	v_add_f64 v[56:57], v[110:111], v[122:123]
	v_add_f64 v[118:119], v[112:113], v[124:125]
	v_add_f64 v[86:87], v[124:125], -v[112:113]
	v_add_f64 v[120:121], v[122:123], -v[110:111]
	s_waitcnt vmcnt(2)
	v_add_f64 v[104:105], v[78:79], v[74:75]
	v_add_f64 v[122:123], v[80:81], v[76:77]
	v_add_f64 v[124:125], v[74:75], -v[78:79]
	v_add_f64 v[74:75], v[76:77], -v[80:81]
	v_add_f64 v[76:77], v[62:63], v[58:59]
	v_add_f64 v[174:175], v[64:65], v[60:61]
	v_add_f64 v[168:169], v[62:63], -v[58:59]
	v_add_f64 v[58:59], v[64:65], -v[60:61]
	s_waitcnt vmcnt(1)
	v_add_f64 v[64:65], v[50:51], v[38:39]
	v_add_f64 v[186:187], v[52:53], v[40:41]
	v_add_f64 v[188:189], v[38:39], -v[50:51]
	v_add_f64 v[38:39], v[40:41], -v[52:53]
	v_add_f64 v[40:41], v[46:47], v[8:9]
	v_add_f64 v[240:241], v[46:47], -v[8:9]
	s_waitcnt vmcnt(0)
	v_add_f64 v[8:9], v[42:43], v[4:5]
	v_add_f64 v[206:207], v[4:5], -v[42:43]
	v_add_f64 v[4:5], v[204:205], v[192:193]
	v_add_f64 v[46:47], v[226:227], -v[194:195]
	s_mov_b32 s8, 0xe976ee23
	s_mov_b32 s9, 0xbfe11646
	v_add_f64 v[208:209], v[48:49], v[10:11]
	v_add_f64 v[10:11], v[48:49], -v[10:11]
	v_add_f64 v[42:43], v[192:193], -v[228:229]
	v_add_f64 v[48:49], v[226:227], v[194:195]
	v_add_f64 v[50:51], v[180:181], -v[226:227]
	s_mov_b32 s2, 0x37e14327
	s_mov_b32 s6, 0xb247c609
	;; [unrolled: 1-line block ×4, first 2 shown]
	v_add_f64 v[210:211], v[44:45], v[6:7]
	v_add_f64 v[6:7], v[6:7], -v[44:45]
	v_add_f64 v[44:45], v[228:229], -v[204:205]
	s_mov_b32 s14, 0x36b3c0b5
	s_mov_b32 s4, 0xaaaaaaaa
	s_mov_b32 s0, 0x37c3f68c
	s_mov_b32 s15, 0x3fac98ee
	s_mov_b32 s5, 0xbff2aaaa
	s_mov_b32 s1, 0x3fdc38aa
	v_add_f64 v[4:5], v[228:229], v[4:5]
	v_mul_f64 v[46:47], v[46:47], s[8:9]
	v_add_f64 v[62:63], v[66:67], v[70:71]
	v_add_f64 v[172:173], v[70:71], -v[66:67]
	v_add_f64 v[176:177], v[68:69], v[72:73]
	v_add_f64 v[60:61], v[72:73], -v[68:69]
	v_mul_f64 v[42:43], v[42:43], s[2:3]
	v_add_f64 v[48:49], v[48:49], v[180:181]
	s_mov_b32 s16, 0x429ad128
	s_mov_b32 s17, 0x3febfeb5
	;; [unrolled: 1-line block ×8, first 2 shown]
	v_add_f64 v[245:246], v[190:191], -v[162:163]
	v_lshl_add_u32 v155, v242, 3, 0
	v_add_f64 v[52:53], v[30:31], v[4:5]
	v_fma_f64 v[30:31], v[50:51], s[6:7], v[46:47]
	v_add_nc_u32_e32 v191, 0x4000, v155
	v_add_nc_u32_e32 v152, 0x3800, v155
	;; [unrolled: 1-line block ×3, first 2 shown]
	v_mov_b32_e32 v190, v152
	v_fma_f64 v[4:5], v[4:5], s[4:5], v[52:53]
	v_fma_f64 v[66:67], v[48:49], s[0:1], v[30:31]
	;; [unrolled: 1-line block ×3, first 2 shown]
	v_mul_f64 v[44:45], v[44:45], s[14:15]
	v_add_f64 v[68:69], v[30:31], v[4:5]
	v_mad_u32_u24 v30, v242, 56, 0
	v_add_nc_u32_e32 v31, 0xab8, v30
	v_add_nc_u32_e32 v164, 0xad8, v30
	;; [unrolled: 1-line block ×5, first 2 shown]
	v_add_f64 v[70:71], v[66:67], v[68:69]
	ds_write2_b64 v30, v[52:53], v[70:71] offset1:1
	v_add_f64 v[52:53], v[194:195], -v[180:181]
	v_add_f64 v[70:71], v[204:205], -v[192:193]
	v_add_nc_u32_e32 v180, 0x2028, v30
	v_add_nc_u32_e32 v181, 0x2048, v30
	;; [unrolled: 1-line block ×8, first 2 shown]
	v_fma_f64 v[46:47], v[52:53], s[16:17], -v[46:47]
	v_mul_f64 v[52:53], v[52:53], s[16:17]
	v_fma_f64 v[42:43], v[70:71], s[22:23], -v[42:43]
	v_fma_f64 v[44:45], v[70:71], s[18:19], -v[44:45]
	v_fma_f64 v[46:47], v[48:49], s[0:1], v[46:47]
	v_fma_f64 v[50:51], v[50:51], s[20:21], -v[52:53]
	v_add_f64 v[42:43], v[42:43], v[4:5]
	v_add_f64 v[4:5], v[44:45], v[4:5]
	v_fma_f64 v[48:49], v[48:49], s[0:1], v[50:51]
	v_add_f64 v[50:51], v[4:5], -v[46:47]
	v_add_f64 v[4:5], v[46:47], v[4:5]
	v_add_f64 v[46:47], v[222:223], v[218:219]
	;; [unrolled: 1-line block ×3, first 2 shown]
	v_add_f64 v[42:43], v[42:43], -v[48:49]
	v_add_f64 v[48:49], v[222:223], -v[218:219]
	v_add_f64 v[46:47], v[46:47], v[214:215]
	ds_write2_b64 v30, v[44:45], v[50:51] offset0:2 offset1:3
	ds_write2_b64 v30, v[4:5], v[42:43] offset0:4 offset1:5
	v_add_f64 v[4:5], v[216:217], v[212:213]
	v_add_f64 v[42:43], v[212:213], -v[220:221]
	v_add_f64 v[44:45], v[220:221], -v[216:217]
	;; [unrolled: 1-line block ×3, first 2 shown]
	v_mul_f64 v[48:49], v[48:49], s[8:9]
	v_add_f64 v[4:5], v[220:221], v[4:5]
	v_mul_f64 v[42:43], v[42:43], s[2:3]
	v_fma_f64 v[70:71], v[50:51], s[6:7], v[48:49]
	v_add_f64 v[0:1], v[0:1], v[4:5]
	v_fma_f64 v[52:53], v[44:45], s[14:15], v[42:43]
	v_mul_f64 v[44:45], v[44:45], s[14:15]
	v_fma_f64 v[70:71], v[46:47], s[0:1], v[70:71]
	v_fma_f64 v[4:5], v[4:5], s[4:5], v[0:1]
	v_add_f64 v[52:53], v[52:53], v[4:5]
	v_add_f64 v[72:73], v[70:71], v[52:53]
	ds_write2_b64 v31, v[0:1], v[72:73] offset1:1
	v_add_f64 v[0:1], v[216:217], -v[212:213]
	v_add_f64 v[72:73], v[218:219], -v[214:215]
	;; [unrolled: 1-line block ×3, first 2 shown]
	v_fma_f64 v[44:45], v[0:1], s[18:19], -v[44:45]
	v_fma_f64 v[0:1], v[0:1], s[22:23], -v[42:43]
	v_mul_f64 v[42:43], v[72:73], s[16:17]
	v_fma_f64 v[48:49], v[72:73], s[16:17], -v[48:49]
	v_add_f64 v[44:45], v[44:45], v[4:5]
	v_add_f64 v[0:1], v[0:1], v[4:5]
	v_fma_f64 v[42:43], v[50:51], s[20:21], -v[42:43]
	v_fma_f64 v[4:5], v[46:47], s[0:1], v[42:43]
	v_fma_f64 v[42:43], v[46:47], s[0:1], v[48:49]
	v_add_f64 v[46:47], v[4:5], v[0:1]
	v_add_f64 v[48:49], v[44:45], -v[42:43]
	v_add_f64 v[42:43], v[42:43], v[44:45]
	v_add_f64 v[0:1], v[0:1], -v[4:5]
	v_add_f64 v[4:5], v[106:107], -v[232:233]
	;; [unrolled: 1-line block ×3, first 2 shown]
	ds_write2_b64 v163, v[46:47], v[48:49] offset1:1
	v_add_f64 v[46:47], v[108:109], v[230:231]
	ds_write2_b64 v164, v[42:43], v[0:1] offset1:1
	v_add_f64 v[0:1], v[224:225], v[106:107]
	v_add_f64 v[42:43], v[232:233], -v[224:225]
	v_mul_f64 v[4:5], v[4:5], s[2:3]
	v_add_f64 v[48:49], v[100:101], -v[108:109]
	v_mul_f64 v[44:45], v[44:45], s[8:9]
	v_add_f64 v[46:47], v[46:47], v[100:101]
	v_add_f64 v[0:1], v[232:233], v[0:1]
	v_add_nc_u32_e32 v233, 0x1000, v155
	v_add_f64 v[50:51], v[34:35], v[0:1]
	v_fma_f64 v[34:35], v[42:43], s[14:15], v[4:5]
	v_mul_f64 v[42:43], v[42:43], s[14:15]
	v_fma_f64 v[0:1], v[0:1], s[4:5], v[50:51]
	v_add_f64 v[72:73], v[34:35], v[0:1]
	v_fma_f64 v[34:35], v[48:49], s[6:7], v[44:45]
	v_fma_f64 v[78:79], v[46:47], s[0:1], v[34:35]
	v_add_nc_u32_e32 v34, 0x1570, v30
	v_add_nc_u32_e32 v35, 0x1580, v30
	v_add_f64 v[80:81], v[78:79], v[72:73]
	ds_write2_b64 v34, v[50:51], v[80:81] offset1:1
	v_add_f64 v[50:51], v[230:231], -v[100:101]
	v_add_f64 v[80:81], v[224:225], -v[106:107]
	v_fma_f64 v[44:45], v[50:51], s[16:17], -v[44:45]
	v_fma_f64 v[42:43], v[80:81], s[18:19], -v[42:43]
	;; [unrolled: 1-line block ×3, first 2 shown]
	v_mul_f64 v[80:81], v[50:51], s[16:17]
	v_fma_f64 v[44:45], v[46:47], s[0:1], v[44:45]
	v_add_f64 v[42:43], v[42:43], v[0:1]
	v_add_f64 v[0:1], v[4:5], v[0:1]
	v_fma_f64 v[48:49], v[48:49], s[20:21], -v[80:81]
	v_fma_f64 v[4:5], v[46:47], s[0:1], v[48:49]
	v_add_f64 v[48:49], v[42:43], -v[44:45]
	v_add_f64 v[42:43], v[44:45], v[42:43]
	v_add_f64 v[44:45], v[94:95], -v[90:91]
	v_add_f64 v[46:47], v[4:5], v[0:1]
	v_add_f64 v[0:1], v[0:1], -v[4:5]
	v_add_f64 v[4:5], v[92:93], -v[102:103]
	v_mul_f64 v[44:45], v[44:45], s[8:9]
	ds_write2_b64 v35, v[46:47], v[48:49] offset1:1
	ds_write2_b64 v165, v[42:43], v[0:1] offset1:1
	v_add_f64 v[0:1], v[98:99], v[92:93]
	v_add_f64 v[42:43], v[102:103], -v[98:99]
	v_add_f64 v[46:47], v[94:95], v[90:91]
	v_add_f64 v[48:49], v[82:83], -v[94:95]
	v_mul_f64 v[4:5], v[4:5], s[2:3]
	v_add_f64 v[0:1], v[102:103], v[0:1]
	v_add_f64 v[46:47], v[46:47], v[82:83]
	v_fma_f64 v[80:81], v[48:49], s[6:7], v[44:45]
	v_fma_f64 v[50:51], v[42:43], s[14:15], v[4:5]
	v_add_f64 v[82:83], v[90:91], -v[82:83]
	v_mul_f64 v[42:43], v[42:43], s[14:15]
	v_add_f64 v[18:19], v[18:19], v[0:1]
	v_fma_f64 v[80:81], v[46:47], s[0:1], v[80:81]
	v_fma_f64 v[44:45], v[82:83], s[16:17], -v[44:45]
	v_fma_f64 v[0:1], v[0:1], s[4:5], v[18:19]
	v_fma_f64 v[44:45], v[46:47], s[0:1], v[44:45]
	v_add_f64 v[50:51], v[50:51], v[0:1]
	v_add_f64 v[94:95], v[80:81], v[50:51]
	ds_write2_b64 v180, v[18:19], v[94:95] offset1:1
	v_add_f64 v[18:19], v[98:99], -v[92:93]
	v_fma_f64 v[42:43], v[18:19], s[18:19], -v[42:43]
	v_fma_f64 v[4:5], v[18:19], s[22:23], -v[4:5]
	v_mul_f64 v[18:19], v[82:83], s[16:17]
	v_add_f64 v[42:43], v[42:43], v[0:1]
	v_add_f64 v[0:1], v[4:5], v[0:1]
	v_fma_f64 v[18:19], v[48:49], s[20:21], -v[18:19]
	v_add_f64 v[48:49], v[42:43], -v[44:45]
	v_add_f64 v[42:43], v[44:45], v[42:43]
	v_fma_f64 v[4:5], v[46:47], s[0:1], v[18:19]
	v_add_f64 v[44:45], v[88:89], -v[54:55]
	v_add_nc_u32_e32 v19, 0x2038, v30
	v_add_nc_u32_e32 v18, 0x4078, v30
	v_add_f64 v[46:47], v[4:5], v[0:1]
	v_add_f64 v[0:1], v[0:1], -v[4:5]
	v_add_f64 v[4:5], v[56:57], -v[96:97]
	v_mul_f64 v[44:45], v[44:45], s[8:9]
	ds_write2_b64 v19, v[46:47], v[48:49] offset1:1
	ds_write2_b64 v181, v[42:43], v[0:1] offset1:1
	v_add_f64 v[0:1], v[84:85], v[56:57]
	v_add_f64 v[42:43], v[96:97], -v[84:85]
	v_add_f64 v[46:47], v[88:89], v[54:55]
	v_add_f64 v[48:49], v[86:87], -v[88:89]
	v_mul_f64 v[4:5], v[4:5], s[2:3]
	v_add_f64 v[0:1], v[96:97], v[0:1]
	v_add_f64 v[46:47], v[46:47], v[86:87]
	v_fma_f64 v[88:89], v[48:49], s[6:7], v[44:45]
	v_fma_f64 v[82:83], v[42:43], s[14:15], v[4:5]
	v_mul_f64 v[42:43], v[42:43], s[14:15]
	v_add_f64 v[14:15], v[14:15], v[0:1]
	v_fma_f64 v[88:89], v[46:47], s[0:1], v[88:89]
	v_fma_f64 v[0:1], v[0:1], s[4:5], v[14:15]
	v_add_f64 v[82:83], v[82:83], v[0:1]
	v_add_f64 v[90:91], v[88:89], v[82:83]
	ds_write2_b64 v194, v[14:15], v[90:91] offset1:1
	v_add_f64 v[14:15], v[54:55], -v[86:87]
	v_add_f64 v[54:55], v[84:85], -v[56:57]
	;; [unrolled: 1-line block ×3, first 2 shown]
	v_fma_f64 v[4:5], v[54:55], s[22:23], -v[4:5]
	v_fma_f64 v[42:43], v[54:55], s[18:19], -v[42:43]
	v_mul_f64 v[54:55], v[14:15], s[16:17]
	v_fma_f64 v[14:15], v[14:15], s[16:17], -v[44:45]
	v_add_f64 v[4:5], v[4:5], v[0:1]
	v_add_f64 v[0:1], v[42:43], v[0:1]
	v_fma_f64 v[48:49], v[48:49], s[20:21], -v[54:55]
	v_fma_f64 v[14:15], v[46:47], s[0:1], v[14:15]
	v_add_f64 v[54:55], v[58:59], v[74:75]
	v_add_f64 v[58:59], v[60:61], -v[58:59]
	v_fma_f64 v[42:43], v[46:47], s[0:1], v[48:49]
	v_add_f64 v[46:47], v[0:1], -v[14:15]
	v_add_f64 v[0:1], v[14:15], v[0:1]
	v_add_f64 v[14:15], v[72:73], -v[78:79]
	v_add_f64 v[48:49], v[62:63], -v[76:77]
	v_add_f64 v[54:55], v[54:55], v[60:61]
	v_add_f64 v[44:45], v[42:43], v[4:5]
	v_add_f64 v[4:5], v[4:5], -v[42:43]
	v_add_f64 v[42:43], v[50:51], -v[80:81]
	;; [unrolled: 1-line block ×3, first 2 shown]
	ds_write2_b64 v195, v[44:45], v[46:47] offset1:1
	v_add_f64 v[44:45], v[104:105], v[62:63]
	ds_write2_b64 v204, v[0:1], v[4:5] offset1:1
	v_add_f64 v[0:1], v[68:69], -v[66:67]
	v_add_f64 v[4:5], v[52:53], -v[70:71]
	;; [unrolled: 1-line block ×5, first 2 shown]
	ds_write_b64 v30, v[0:1] offset:48
	ds_write_b64 v30, v[4:5] offset:2792
	;; [unrolled: 1-line block ×5, first 2 shown]
	v_add_f64 v[44:45], v[76:77], v[44:45]
	v_mul_f64 v[14:15], v[56:57], s[8:9]
	s_load_dwordx2 s[24:25], s[24:25], 0x0
	v_mul_f64 v[42:43], v[62:63], s[16:17]
	v_add_f64 v[0:1], v[26:27], v[44:45]
	v_fma_f64 v[42:43], v[58:59], s[20:21], -v[42:43]
	v_fma_f64 v[4:5], v[44:45], s[4:5], v[0:1]
	ds_write_b64 v30, v[0:1] offset:13720
	v_mul_f64 v[0:1], v[48:49], s[2:3]
	v_fma_f64 v[44:45], v[58:59], s[6:7], v[14:15]
	v_fma_f64 v[42:43], v[54:55], s[0:1], v[42:43]
	v_fma_f64 v[14:15], v[62:63], s[16:17], -v[14:15]
	v_fma_f64 v[26:27], v[50:51], s[14:15], v[0:1]
	v_fma_f64 v[0:1], v[46:47], s[22:23], -v[0:1]
	v_fma_f64 v[44:45], v[54:55], s[0:1], v[44:45]
	v_fma_f64 v[14:15], v[54:55], s[0:1], v[14:15]
	v_add_f64 v[26:27], v[26:27], v[4:5]
	v_add_f64 v[0:1], v[0:1], v[4:5]
	;; [unrolled: 1-line block ×4, first 2 shown]
	v_add_f64 v[0:1], v[0:1], -v[42:43]
	ds_write2_b64 v183, v[48:49], v[52:53] offset1:1
	v_mul_f64 v[48:49], v[50:51], s[14:15]
	v_add_nc_u32_e32 v50, 0x2000, v155
	v_mov_b32_e32 v231, v50
	v_fma_f64 v[46:47], v[46:47], s[18:19], -v[48:49]
	v_add_f64 v[4:5], v[46:47], v[4:5]
	v_add_f64 v[46:47], v[4:5], -v[14:15]
	v_add_f64 v[4:5], v[14:15], v[4:5]
	v_add_f64 v[14:15], v[40:41], -v[64:65]
	ds_write2_b64 v192, v[46:47], v[4:5] offset1:1
	v_add_f64 v[4:5], v[26:27], -v[44:45]
	v_add_f64 v[26:27], v[10:11], v[38:39]
	ds_write2_b64 v193, v[0:1], v[4:5] offset1:1
	v_add_f64 v[0:1], v[64:65], v[8:9]
	v_add_f64 v[4:5], v[8:9], -v[40:41]
	v_add_f64 v[8:9], v[64:65], -v[8:9]
	v_add_f64 v[0:1], v[40:41], v[0:1]
	v_add_f64 v[40:41], v[10:11], -v[38:39]
	v_add_f64 v[38:39], v[38:39], -v[6:7]
	v_mul_f64 v[4:5], v[4:5], s[2:3]
	v_add_f64 v[10:11], v[6:7], -v[10:11]
	v_add_f64 v[6:7], v[26:27], v[6:7]
	v_add_f64 v[22:23], v[22:23], v[0:1]
	v_mul_f64 v[26:27], v[40:41], s[8:9]
	v_mul_f64 v[40:41], v[38:39], s[16:17]
	v_fma_f64 v[0:1], v[0:1], s[4:5], v[22:23]
	ds_write_b64 v30, v[22:23] offset:16464
	v_fma_f64 v[22:23], v[14:15], s[14:15], v[4:5]
	v_mul_f64 v[14:15], v[14:15], s[14:15]
	v_fma_f64 v[4:5], v[8:9], s[22:23], -v[4:5]
	v_fma_f64 v[40:41], v[10:11], s[20:21], -v[40:41]
	v_fma_f64 v[10:11], v[10:11], s[6:7], v[26:27]
	v_add_f64 v[42:43], v[22:23], v[0:1]
	v_fma_f64 v[8:9], v[8:9], s[18:19], -v[14:15]
	v_fma_f64 v[14:15], v[38:39], s[16:17], -v[26:27]
	v_add_f64 v[4:5], v[4:5], v[0:1]
	v_fma_f64 v[10:11], v[6:7], s[0:1], v[10:11]
	v_fma_f64 v[40:41], v[6:7], s[0:1], v[40:41]
	v_add_nc_u32_e32 v23, 0x4068, v30
	v_add_nc_u32_e32 v22, 0x4058, v30
	v_add_f64 v[0:1], v[8:9], v[0:1]
	v_fma_f64 v[6:7], v[6:7], s[0:1], v[14:15]
	v_add_f64 v[44:45], v[10:11], v[42:43]
	v_add_f64 v[46:47], v[40:41], v[4:5]
	v_add_f64 v[8:9], v[0:1], -v[6:7]
	v_add_f64 v[0:1], v[6:7], v[0:1]
	v_add_f64 v[6:7], v[12:13], -v[134:135]
	ds_write2_b64 v22, v[44:45], v[46:47] offset1:1
	v_add_nc_u32_e32 v44, 0x2800, v155
	v_add_nc_u32_e32 v45, 0x3000, v155
	v_mov_b32_e32 v232, v44
	v_mov_b32_e32 v247, v45
	ds_write2_b64 v23, v[8:9], v[0:1] offset1:1
	v_add_f64 v[0:1], v[4:5], -v[40:41]
	v_add_f64 v[4:5], v[42:43], -v[10:11]
	v_mul_f64 v[222:223], v[6:7], s[8:9]
	v_add_nc_u32_e32 v10, 0x800, v155
	v_add_nc_u32_e32 v9, 0x3400, v155
	;; [unrolled: 1-line block ×4, first 2 shown]
	v_mov_b32_e32 v145, v10
	v_mov_b32_e32 v162, v9
	;; [unrolled: 1-line block ×3, first 2 shown]
	ds_write2_b64 v18, v[0:1], v[4:5] offset1:1
	v_add_f64 v[0:1], v[140:141], v[178:179]
	v_add_f64 v[4:5], v[178:179], -v[170:171]
	s_waitcnt lgkmcnt(0)
	s_barrier
	buffer_gl0_inv
	v_add_f64 v[0:1], v[170:171], v[0:1]
	v_add_f64 v[170:171], v[170:171], -v[140:141]
	v_mul_f64 v[216:217], v[4:5], s[2:3]
	v_add_f64 v[4:5], v[12:13], v[134:135]
	v_add_f64 v[134:135], v[134:135], -v[138:139]
	v_add_f64 v[2:3], v[2:3], v[0:1]
	v_add_f64 v[220:221], v[4:5], v[138:139]
	v_fma_f64 v[4:5], v[170:171], s[14:15], v[216:217]
	v_mul_f64 v[138:139], v[170:171], s[14:15]
	v_fma_f64 v[0:1], v[0:1], s[4:5], v[2:3]
	v_add_f64 v[224:225], v[4:5], v[0:1]
	v_fma_f64 v[4:5], v[218:219], s[6:7], v[222:223]
	v_fma_f64 v[226:227], v[220:221], s[0:1], v[4:5]
	ds_read_b64 v[26:27], v155 offset:18816
	ds_read2_b64 v[12:15], v155 offset1:49
	ds_read2_b64 v[4:7], v10 offset0:38 offset1:87
	ds_read2_b64 v[114:117], v233 offset0:174 offset1:223
	;; [unrolled: 1-line block ×23, first 2 shown]
	s_waitcnt lgkmcnt(0)
	s_barrier
	buffer_gl0_inv
	v_add_f64 v[228:229], v[224:225], -v[226:227]
	ds_write2_b64 v31, v[2:3], v[228:229] offset1:1
	v_add_f64 v[2:3], v[140:141], -v[178:179]
	v_mul_f64 v[140:141], v[134:135], s[16:17]
	v_fma_f64 v[134:135], v[134:135], s[16:17], -v[222:223]
	v_fma_f64 v[138:139], v[2:3], s[18:19], -v[138:139]
	;; [unrolled: 1-line block ×4, first 2 shown]
	v_fma_f64 v[134:135], v[220:221], s[0:1], v[134:135]
	v_add_f64 v[138:139], v[138:139], v[0:1]
	v_add_f64 v[0:1], v[2:3], v[0:1]
	v_fma_f64 v[2:3], v[220:221], s[0:1], v[140:141]
	v_add_f64 v[170:171], v[134:135], v[138:139]
	v_add_f64 v[134:135], v[138:139], -v[134:135]
	v_add_f64 v[140:141], v[0:1], -v[2:3]
	v_add_f64 v[0:1], v[2:3], v[0:1]
	v_add_f64 v[138:139], v[132:133], -v[126:127]
	ds_write2_b64 v163, v[140:141], v[170:171] offset1:1
	ds_write2_b64 v164, v[134:135], v[0:1] offset1:1
	v_add_f64 v[0:1], v[136:137], v[128:129]
	v_add_f64 v[134:135], v[142:143], -v[136:137]
	v_add_f64 v[140:141], v[132:133], v[126:127]
	v_add_f64 v[132:133], v[130:131], -v[132:133]
	v_mul_f64 v[138:139], v[138:139], s[8:9]
	v_add_f64 v[0:1], v[142:143], v[0:1]
	v_add_f64 v[140:141], v[140:141], v[130:131]
	v_fma_f64 v[163:164], v[132:133], s[6:7], v[138:139]
	v_add_f64 v[2:3], v[36:37], v[0:1]
	v_add_f64 v[36:37], v[128:129], -v[142:143]
	v_fma_f64 v[163:164], v[140:141], s[0:1], v[163:164]
	v_fma_f64 v[0:1], v[0:1], s[4:5], v[2:3]
	v_mul_f64 v[36:37], v[36:37], s[2:3]
	v_fma_f64 v[142:143], v[134:135], s[14:15], v[36:37]
	v_add_f64 v[142:143], v[142:143], v[0:1]
	v_add_f64 v[170:171], v[142:143], -v[163:164]
	ds_write2_b64 v34, v[2:3], v[170:171] offset1:1
	v_add_f64 v[2:3], v[126:127], -v[130:131]
	v_add_f64 v[126:127], v[136:137], -v[128:129]
	v_mul_f64 v[128:129], v[134:135], s[14:15]
	v_add_nc_u16 v171, v242, 0x93
	v_fma_f64 v[36:37], v[126:127], s[22:23], -v[36:37]
	v_fma_f64 v[128:129], v[126:127], s[18:19], -v[128:129]
	v_mul_f64 v[126:127], v[2:3], s[16:17]
	v_fma_f64 v[2:3], v[2:3], s[16:17], -v[138:139]
	v_add_f64 v[128:129], v[128:129], v[0:1]
	v_fma_f64 v[126:127], v[132:133], s[20:21], -v[126:127]
	v_add_f64 v[0:1], v[36:37], v[0:1]
	v_fma_f64 v[2:3], v[140:141], s[0:1], v[2:3]
	v_fma_f64 v[36:37], v[140:141], s[0:1], v[126:127]
	v_add_f64 v[130:131], v[2:3], v[128:129]
	v_add_f64 v[2:3], v[128:129], -v[2:3]
	v_add_f64 v[128:129], v[250:251], -v[184:185]
	;; [unrolled: 1-line block ×3, first 2 shown]
	v_add_f64 v[0:1], v[36:37], v[0:1]
	v_add_f64 v[36:37], v[184:185], -v[146:147]
	ds_write2_b64 v35, v[126:127], v[130:131] offset1:1
	ds_write2_b64 v165, v[2:3], v[0:1] offset1:1
	v_add_f64 v[0:1], v[248:249], v[148:149]
	v_add_f64 v[34:35], v[158:159], -v[248:249]
	v_add_f64 v[126:127], v[184:185], v[146:147]
	v_mul_f64 v[36:37], v[36:37], s[8:9]
	v_add_f64 v[0:1], v[158:159], v[0:1]
	v_add_f64 v[126:127], v[126:127], v[250:251]
	v_fma_f64 v[132:133], v[128:129], s[6:7], v[36:37]
	v_add_f64 v[2:3], v[20:21], v[0:1]
	v_add_f64 v[20:21], v[148:149], -v[158:159]
	v_mov_b32_e32 v158, v230
	v_fma_f64 v[132:133], v[126:127], s[0:1], v[132:133]
	v_fma_f64 v[0:1], v[0:1], s[4:5], v[2:3]
	v_mul_f64 v[20:21], v[20:21], s[2:3]
	v_fma_f64 v[130:131], v[34:35], s[14:15], v[20:21]
	v_mul_f64 v[34:35], v[34:35], s[14:15]
	v_add_f64 v[130:131], v[130:131], v[0:1]
	v_add_f64 v[134:135], v[130:131], -v[132:133]
	ds_write2_b64 v180, v[2:3], v[134:135] offset1:1
	v_add_f64 v[2:3], v[248:249], -v[148:149]
	v_add_f64 v[134:135], v[146:147], -v[250:251]
	v_mov_b32_e32 v149, v145
	v_add_nc_u16 v146, v242, 0xc4
	v_fma_f64 v[34:35], v[2:3], s[18:19], -v[34:35]
	v_fma_f64 v[2:3], v[2:3], s[22:23], -v[20:21]
	v_mul_f64 v[20:21], v[134:135], s[16:17]
	v_fma_f64 v[36:37], v[134:135], s[16:17], -v[36:37]
	v_add_f64 v[34:35], v[34:35], v[0:1]
	v_add_f64 v[0:1], v[2:3], v[0:1]
	v_fma_f64 v[20:21], v[128:129], s[20:21], -v[20:21]
	v_fma_f64 v[2:3], v[126:127], s[0:1], v[20:21]
	v_fma_f64 v[20:21], v[126:127], s[0:1], v[36:37]
	v_add_f64 v[36:37], v[0:1], -v[2:3]
	v_add_f64 v[126:127], v[20:21], v[34:35]
	v_add_f64 v[0:1], v[2:3], v[0:1]
	ds_write2_b64 v19, v[36:37], v[126:127] offset1:1
	v_add_f64 v[19:20], v[34:35], -v[20:21]
	v_add_f64 v[34:35], v[160:161], -v[156:157]
	v_add_f64 v[36:37], v[160:161], v[156:157]
	v_add_f64 v[126:127], v[120:121], -v[160:161]
	ds_write2_b64 v181, v[19:20], v[0:1] offset1:1
	v_add_f64 v[0:1], v[196:197], v[118:119]
	v_add_f64 v[19:20], v[166:167], -v[196:197]
	v_mul_f64 v[34:35], v[34:35], s[8:9]
	v_add_f64 v[36:37], v[36:37], v[120:121]
	v_add_f64 v[0:1], v[166:167], v[0:1]
	v_fma_f64 v[134:135], v[126:127], s[6:7], v[34:35]
	v_add_f64 v[2:3], v[16:17], v[0:1]
	v_add_f64 v[16:17], v[118:119], -v[166:167]
	v_fma_f64 v[134:135], v[36:37], s[0:1], v[134:135]
	v_add_f64 v[118:119], v[196:197], -v[118:119]
	v_fma_f64 v[0:1], v[0:1], s[4:5], v[2:3]
	v_mul_f64 v[16:17], v[16:17], s[2:3]
	v_fma_f64 v[128:129], v[19:20], s[14:15], v[16:17]
	v_mul_f64 v[19:20], v[19:20], s[14:15]
	v_fma_f64 v[16:17], v[118:119], s[22:23], -v[16:17]
	v_add_f64 v[128:129], v[128:129], v[0:1]
	v_fma_f64 v[19:20], v[118:119], s[18:19], -v[19:20]
	v_add_f64 v[16:17], v[16:17], v[0:1]
	v_add_f64 v[136:137], v[128:129], -v[134:135]
	v_add_f64 v[0:1], v[19:20], v[0:1]
	ds_write2_b64 v194, v[2:3], v[136:137] offset1:1
	v_add_f64 v[2:3], v[156:157], -v[120:121]
	v_mul_f64 v[118:119], v[2:3], s[16:17]
	v_fma_f64 v[2:3], v[2:3], s[16:17], -v[34:35]
	v_fma_f64 v[118:119], v[126:127], s[20:21], -v[118:119]
	v_fma_f64 v[2:3], v[36:37], s[0:1], v[2:3]
	v_fma_f64 v[19:20], v[36:37], s[0:1], v[118:119]
	v_add_f64 v[36:37], v[2:3], v[0:1]
	v_add_f64 v[0:1], v[0:1], -v[2:3]
	v_add_f64 v[2:3], v[19:20], v[16:17]
	v_add_f64 v[34:35], v[16:17], -v[19:20]
	v_add_f64 v[16:17], v[245:246], -v[238:239]
	v_add_f64 v[19:20], v[245:246], v[238:239]
	ds_write2_b64 v204, v[0:1], v[2:3] offset1:1
	v_add_f64 v[0:1], v[202:203], v[234:235]
	ds_write2_b64 v195, v[34:35], v[36:37] offset1:1
	v_mul_f64 v[16:17], v[16:17], s[8:9]
	v_add_f64 v[35:36], v[243:244], -v[202:203]
	v_add_f64 v[19:20], v[19:20], v[236:237]
	v_add_nc_u32_e32 v195, 0x1c00, v155
	v_add_f64 v[0:1], v[243:244], v[0:1]
	v_add_f64 v[2:3], v[32:33], v[0:1]
	v_add_f64 v[33:34], v[234:235], -v[243:244]
	v_add_f64 v[31:32], v[236:237], -v[245:246]
	v_fma_f64 v[0:1], v[0:1], s[4:5], v[2:3]
	v_mul_f64 v[33:34], v[33:34], s[2:3]
	v_fma_f64 v[118:119], v[31:32], s[6:7], v[16:17]
	v_fma_f64 v[120:121], v[35:36], s[14:15], v[33:34]
	;; [unrolled: 1-line block ×3, first 2 shown]
	v_add_f64 v[120:121], v[120:121], v[0:1]
	v_add_f64 v[126:127], v[120:121], -v[118:119]
	ds_write2_b64 v30, v[2:3], v[126:127] offset1:1
	v_add_f64 v[2:3], v[238:239], -v[236:237]
	v_add_f64 v[126:127], v[202:203], -v[234:235]
	v_fma_f64 v[16:17], v[2:3], s[16:17], -v[16:17]
	v_mul_f64 v[2:3], v[2:3], s[16:17]
	v_fma_f64 v[33:34], v[126:127], s[22:23], -v[33:34]
	v_fma_f64 v[16:17], v[19:20], s[0:1], v[16:17]
	v_fma_f64 v[2:3], v[31:32], s[20:21], -v[2:3]
	v_mul_f64 v[31:32], v[35:36], s[14:15]
	v_add_f64 v[35:36], v[176:177], -v[174:175]
	v_fma_f64 v[2:3], v[19:20], s[0:1], v[2:3]
	v_fma_f64 v[31:32], v[126:127], s[18:19], -v[31:32]
	v_add_f64 v[19:20], v[33:34], v[0:1]
	v_add_f64 v[126:127], v[168:169], -v[124:125]
	v_add_f64 v[0:1], v[31:32], v[0:1]
	v_add_f64 v[31:32], v[19:20], -v[2:3]
	v_add_f64 v[2:3], v[2:3], v[19:20]
	v_add_f64 v[19:20], v[132:133], v[130:131]
	;; [unrolled: 1-line block ×3, first 2 shown]
	v_add_f64 v[0:1], v[0:1], -v[16:17]
	v_add_f64 v[16:17], v[163:164], v[142:143]
	ds_write2_b64 v30, v[31:32], v[33:34] offset0:2 offset1:3
	v_add_f64 v[31:32], v[122:123], v[176:177]
	ds_write2_b64 v30, v[0:1], v[2:3] offset0:4 offset1:5
	v_add_f64 v[0:1], v[118:119], v[120:121]
	v_add_f64 v[33:34], v[122:123], -v[176:177]
	v_add_f64 v[118:119], v[174:175], -v[122:123]
	v_add_f64 v[122:123], v[168:169], v[124:125]
	v_add_f64 v[124:125], v[124:125], -v[172:173]
	v_add_f64 v[2:3], v[226:227], v[224:225]
	v_add_f64 v[120:121], v[134:135], v[128:129]
	v_add_f64 v[128:129], v[172:173], -v[168:169]
	ds_write_b64 v30, v[0:1] offset:48
	ds_write_b64 v30, v[2:3] offset:2792
	;; [unrolled: 1-line block ×5, first 2 shown]
	v_add_f64 v[31:32], v[174:175], v[31:32]
	v_mul_f64 v[2:3], v[35:36], s[2:3]
	v_mul_f64 v[16:17], v[126:127], s[8:9]
	v_add_f64 v[122:123], v[122:123], v[172:173]
	v_add_nc_u16 v226, v242, 0x62
	v_add_f64 v[28:29], v[28:29], v[31:32]
	v_fma_f64 v[19:20], v[118:119], s[14:15], v[2:3]
	v_fma_f64 v[2:3], v[33:34], s[22:23], -v[2:3]
	v_fma_f64 v[0:1], v[31:32], s[4:5], v[28:29]
	ds_write_b64 v30, v[28:29] offset:13720
	v_mul_f64 v[28:29], v[124:125], s[16:17]
	v_fma_f64 v[31:32], v[128:129], s[6:7], v[16:17]
	v_fma_f64 v[16:17], v[124:125], s[16:17], -v[16:17]
	v_add_f64 v[19:20], v[19:20], v[0:1]
	v_add_f64 v[2:3], v[2:3], v[0:1]
	v_fma_f64 v[28:29], v[128:129], s[20:21], -v[28:29]
	v_fma_f64 v[31:32], v[122:123], s[0:1], v[31:32]
	v_fma_f64 v[16:17], v[122:123], s[0:1], v[16:17]
	;; [unrolled: 1-line block ×3, first 2 shown]
	v_add_f64 v[35:36], v[19:20], -v[31:32]
	v_add_f64 v[120:121], v[2:3], -v[28:29]
	ds_write2_b64 v183, v[35:36], v[120:121] offset1:1
	v_mul_f64 v[35:36], v[118:119], s[14:15]
	v_fma_f64 v[33:34], v[33:34], s[18:19], -v[35:36]
	v_add_f64 v[35:36], v[206:207], -v[240:241]
	v_add_f64 v[0:1], v[33:34], v[0:1]
	v_add_f64 v[33:34], v[16:17], v[0:1]
	v_add_f64 v[0:1], v[0:1], -v[16:17]
	v_add_f64 v[16:17], v[208:209], -v[186:187]
	ds_write2_b64 v192, v[33:34], v[0:1] offset1:1
	v_add_f64 v[0:1], v[28:29], v[2:3]
	v_add_f64 v[2:3], v[31:32], v[19:20]
	v_add_f64 v[31:32], v[240:241], -v[188:189]
	v_add_f64 v[19:20], v[186:187], -v[210:211]
	v_add_f64 v[28:29], v[240:241], v[188:189]
	v_add_f64 v[33:34], v[188:189], -v[206:207]
	ds_write2_b64 v193, v[0:1], v[2:3] offset1:1
	v_add_f64 v[0:1], v[186:187], v[210:211]
	v_add_f64 v[2:3], v[210:211], -v[208:209]
	v_add_f64 v[28:29], v[28:29], v[206:207]
	v_mul_f64 v[118:119], v[33:34], s[16:17]
	v_add_f64 v[0:1], v[208:209], v[0:1]
	v_mul_f64 v[2:3], v[2:3], s[2:3]
	v_fma_f64 v[118:119], v[35:36], s[20:21], -v[118:119]
	v_add_f64 v[24:25], v[24:25], v[0:1]
	v_fma_f64 v[118:119], v[28:29], s[0:1], v[118:119]
	ds_write_b64 v30, v[24:25] offset:16464
	v_fma_f64 v[0:1], v[0:1], s[4:5], v[24:25]
	v_mul_f64 v[24:25], v[31:32], s[8:9]
	v_fma_f64 v[30:31], v[16:17], s[14:15], v[2:3]
	v_mul_f64 v[16:17], v[16:17], s[14:15]
	v_fma_f64 v[2:3], v[19:20], s[22:23], -v[2:3]
	v_fma_f64 v[35:36], v[35:36], s[6:7], v[24:25]
	v_add_f64 v[30:31], v[30:31], v[0:1]
	v_fma_f64 v[16:17], v[19:20], s[18:19], -v[16:17]
	v_fma_f64 v[19:20], v[33:34], s[16:17], -v[24:25]
	v_add_f64 v[2:3], v[2:3], v[0:1]
	v_fma_f64 v[35:36], v[28:29], s[0:1], v[35:36]
	v_add_f64 v[0:1], v[16:17], v[0:1]
	v_fma_f64 v[16:17], v[28:29], s[0:1], v[19:20]
	v_add_f64 v[122:123], v[2:3], -v[118:119]
	v_add_f64 v[120:121], v[30:31], -v[35:36]
	v_add_f64 v[19:20], v[16:17], v[0:1]
	v_add_f64 v[0:1], v[0:1], -v[16:17]
	ds_write2_b64 v22, v[120:121], v[122:123] offset1:1
	ds_write2_b64 v23, v[19:20], v[0:1] offset1:1
	v_add_f64 v[0:1], v[118:119], v[2:3]
	v_add_f64 v[2:3], v[35:36], v[30:31]
	v_mov_b32_e32 v30, 6
	ds_write2_b64 v18, v[0:1], v[2:3] offset1:1
	v_and_b32_e32 v0, 0xff, v242
	v_mul_lo_u16 v0, v0, 37
	v_lshrrev_b16 v0, 8, v0
	v_sub_nc_u16 v1, v242, v0
	v_lshrrev_b16 v1, 1, v1
	v_and_b32_e32 v1, 0x7f, v1
	v_add_nc_u16 v0, v1, v0
	v_lshrrev_b16 v0, 2, v0
	buffer_store_dword v0, off, s[28:31], 0 offset:16 ; 4-byte Folded Spill
	v_mul_lo_u16 v0, v0, 7
	s_waitcnt lgkmcnt(0)
	s_waitcnt_vscnt null, 0x0
	s_barrier
	buffer_gl0_inv
	ds_read2_b64 v[20:23], v233 offset0:174 offset1:223
	v_sub_nc_u16 v170, v242, v0
	v_mul_u32_u24_sdwa v0, v170, v30 dst_sel:DWORD dst_unused:UNUSED_PAD src0_sel:BYTE_0 src1_sel:DWORD
	v_lshlrev_b32_e32 v28, 4, v0
	s_clause 0x1
	global_load_dwordx4 v[16:19], v28, s[12:13] offset:16
	global_load_dwordx4 v[31:34], v28, s[12:13]
	s_waitcnt vmcnt(1) lgkmcnt(0)
	v_mul_f64 v[0:1], v[20:21], v[18:19]
	v_fma_f64 v[245:246], v[114:115], v[16:17], -v[0:1]
	v_mul_f64 v[0:1], v[114:115], v[18:19]
	v_fma_f64 v[188:189], v[20:21], v[16:17], v[0:1]
	v_add_nc_u16 v0, v242, 49
	v_and_b32_e32 v1, 0xff, v0
	v_mul_lo_u16 v1, v1, 37
	v_lshrrev_b16 v1, 8, v1
	v_sub_nc_u16 v2, v0, v1
	v_lshrrev_b16 v2, 1, v2
	v_and_b32_e32 v2, 0x7f, v2
	v_add_nc_u16 v1, v2, v1
	v_lshrrev_b16 v181, 2, v1
	v_mul_lo_u16 v1, v181, 7
	v_sub_nc_u16 v180, v0, v1
	v_mul_u32_u24_sdwa v0, v180, v30 dst_sel:DWORD dst_unused:UNUSED_PAD src0_sel:BYTE_0 src1_sel:DWORD
	v_lshlrev_b32_e32 v35, 4, v0
	s_clause 0x2
	global_load_dwordx4 v[18:21], v35, s[12:13] offset:16
	global_load_dwordx4 v[118:121], v35, s[12:13]
	global_load_dwordx4 v[252:255], v28, s[12:13] offset:32
	s_waitcnt vmcnt(2)
	v_mul_f64 v[0:1], v[22:23], v[20:21]
	v_fma_f64 v[186:187], v[116:117], v[18:19], -v[0:1]
	v_mul_f64 v[0:1], v[116:117], v[20:21]
	ds_read2_b64 v[114:117], v232 offset0:92 offset1:141
	v_fma_f64 v[178:179], v[22:23], v[18:19], v[0:1]
	s_clause 0x2
	global_load_dwordx4 v[20:23], v28, s[12:13] offset:48
	global_load_dwordx4 v[124:127], v35, s[12:13] offset:48
	;; [unrolled: 1-line block ×3, first 2 shown]
	v_mov_b32_e32 v18, v162
	s_waitcnt vmcnt(2) lgkmcnt(0)
	v_mul_f64 v[0:1], v[114:115], v[22:23]
	v_fma_f64 v[182:183], v[110:111], v[20:21], -v[0:1]
	v_mul_f64 v[0:1], v[110:111], v[22:23]
	v_fma_f64 v[192:193], v[114:115], v[20:21], v[0:1]
	s_waitcnt vmcnt(1)
	v_mul_f64 v[0:1], v[116:117], v[126:127]
	v_fma_f64 v[167:168], v[112:113], v[124:125], -v[0:1]
	v_mul_f64 v[0:1], v[112:113], v[126:127]
	v_fma_f64 v[165:166], v[116:117], v[124:125], v[0:1]
	s_clause 0x1
	global_load_dwordx4 v[110:113], v28, s[12:13] offset:80
	global_load_dwordx4 v[0:3], v28, s[12:13] offset:64
	ds_read2_b64 v[114:117], v191 offset0:10 offset1:59
	s_waitcnt vmcnt(1) lgkmcnt(0)
	v_mul_f64 v[22:23], v[114:115], v[112:113]
	v_mul_f64 v[28:29], v[106:107], v[112:113]
	v_fma_f64 v[236:237], v[106:107], v[110:111], -v[22:23]
	v_fma_f64 v[156:157], v[114:115], v[110:111], v[28:29]
	s_clause 0x1
	global_load_dwordx4 v[110:113], v35, s[12:13] offset:80
	global_load_dwordx4 v[122:125], v35, s[12:13] offset:64
	s_waitcnt vmcnt(1)
	v_mul_f64 v[35:36], v[116:117], v[112:113]
	v_fma_f64 v[184:185], v[108:109], v[110:111], -v[35:36]
	v_mul_f64 v[35:36], v[108:109], v[112:113]
	ds_read2_b64 v[106:109], v145 offset0:136 offset1:185
	v_fma_f64 v[114:115], v[116:117], v[110:111], v[35:36]
	s_waitcnt lgkmcnt(0)
	v_mul_f64 v[35:36], v[106:107], v[120:121]
	v_fma_f64 v[138:139], v[102:103], v[118:119], -v[35:36]
	v_mul_f64 v[35:36], v[102:103], v[120:121]
	v_fma_f64 v[126:127], v[106:107], v[118:119], v[35:36]
	v_and_b32_e32 v35, 0xff, v226
	v_mul_lo_u16 v35, v35, 37
	v_lshrrev_b16 v35, 8, v35
	v_sub_nc_u16 v36, v226, v35
	v_lshrrev_b16 v36, 1, v36
	v_and_b32_e32 v36, 0x7f, v36
	v_add_nc_u16 v35, v36, v35
	v_lshrrev_b16 v22, 2, v35
	v_mul_lo_u16 v35, v22, 7
	v_sub_nc_u16 v152, v226, v35
	v_mul_u32_u24_sdwa v35, v152, v30 dst_sel:DWORD dst_unused:UNUSED_PAD src0_sel:BYTE_0 src1_sel:DWORD
	v_lshlrev_b32_e32 v37, 4, v35
	s_clause 0x1
	global_load_dwordx4 v[110:113], v37, s[12:13]
	global_load_dwordx4 v[118:121], v37, s[12:13] offset:16
	s_waitcnt vmcnt(1)
	v_mul_f64 v[35:36], v[108:109], v[112:113]
	v_fma_f64 v[174:175], v[104:105], v[110:111], -v[35:36]
	v_mul_f64 v[35:36], v[104:105], v[112:113]
	v_fma_f64 v[16:17], v[108:109], v[110:111], v[35:36]
	buffer_store_dword v16, off, s[28:31], 0 offset:408 ; 4-byte Folded Spill
	buffer_store_dword v17, off, s[28:31], 0 offset:412 ; 4-byte Folded Spill
	ds_read2_b64 v[102:105], v231 offset0:54 offset1:103
	s_clause 0x1
	global_load_dwordx4 v[108:111], v37, s[12:13] offset:32
	global_load_dwordx4 v[134:137], v37, s[12:13] offset:48
	s_waitcnt lgkmcnt(0)
	v_mul_f64 v[35:36], v[102:103], v[132:133]
	v_fma_f64 v[160:161], v[98:99], v[130:131], -v[35:36]
	v_mul_f64 v[35:36], v[98:99], v[132:133]
	v_fma_f64 v[128:129], v[102:103], v[130:131], v[35:36]
	s_waitcnt vmcnt(1)
	v_mul_f64 v[35:36], v[104:105], v[110:111]
	v_fma_f64 v[144:145], v[100:101], v[108:109], -v[35:36]
	v_mul_f64 v[35:36], v[100:101], v[110:111]
	v_fma_f64 v[16:17], v[104:105], v[108:109], v[35:36]
	buffer_store_dword v16, off, s[28:31], 0 offset:512 ; 4-byte Folded Spill
	buffer_store_dword v17, off, s[28:31], 0 offset:516 ; 4-byte Folded Spill
	ds_read2_b64 v[98:101], v162 offset0:100 offset1:149
	s_clause 0x1
	global_load_dwordx4 v[102:105], v37, s[12:13] offset:64
	global_load_dwordx4 v[108:111], v37, s[12:13] offset:80
	s_waitcnt lgkmcnt(0)
	v_mul_f64 v[35:36], v[98:99], v[124:125]
	v_fma_f64 v[210:211], v[94:95], v[122:123], -v[35:36]
	v_mul_f64 v[35:36], v[94:95], v[124:125]
	v_fma_f64 v[122:123], v[98:99], v[122:123], v[35:36]
	s_waitcnt vmcnt(1)
	v_mul_f64 v[35:36], v[100:101], v[104:105]
	v_fma_f64 v[142:143], v[96:97], v[102:103], -v[35:36]
	v_mul_f64 v[35:36], v[96:97], v[104:105]
	ds_read2_b64 v[94:97], v205 offset0:16 offset1:65
	v_fma_f64 v[163:164], v[100:101], v[102:103], v[35:36]
	s_waitcnt lgkmcnt(0)
	v_mul_f64 v[35:36], v[94:95], v[120:121]
	v_fma_f64 v[140:141], v[90:91], v[118:119], -v[35:36]
	v_mul_f64 v[35:36], v[90:91], v[120:121]
	v_fma_f64 v[172:173], v[94:95], v[118:119], v[35:36]
	v_and_b32_e32 v35, 0xff, v171
	v_mul_lo_u16 v35, v35, 37
	v_lshrrev_b16 v35, 8, v35
	v_sub_nc_u16 v36, v171, v35
	v_lshrrev_b16 v36, 1, v36
	v_and_b32_e32 v36, 0x7f, v36
	v_add_nc_u16 v35, v36, v35
	v_lshrrev_b16 v169, 2, v35
	v_mul_lo_u16 v35, v169, 7
	v_sub_nc_u16 v19, v171, v35
	v_mul_u32_u24_sdwa v35, v19, v30 dst_sel:DWORD dst_unused:UNUSED_PAD src0_sel:BYTE_0 src1_sel:DWORD
	v_lshlrev_b32_e32 v37, 4, v35
	s_clause 0x1
	global_load_dwordx4 v[98:101], v37, s[12:13] offset:16
	global_load_dwordx4 v[102:105], v37, s[12:13]
	s_waitcnt vmcnt(1)
	v_mul_f64 v[35:36], v[96:97], v[100:101]
	v_fma_f64 v[16:17], v[92:93], v[98:99], -v[35:36]
	v_mul_f64 v[35:36], v[92:93], v[100:101]
	buffer_store_dword v16, off, s[28:31], 0 offset:440 ; 4-byte Folded Spill
	buffer_store_dword v17, off, s[28:31], 0 offset:444 ; 4-byte Folded Spill
	v_fma_f64 v[16:17], v[96:97], v[98:99], v[35:36]
	buffer_store_dword v16, off, s[28:31], 0 offset:360 ; 4-byte Folded Spill
	buffer_store_dword v17, off, s[28:31], 0 offset:364 ; 4-byte Folded Spill
	ds_read2_b64 v[92:95], v232 offset0:190 offset1:239
	s_waitcnt lgkmcnt(0)
	v_mul_f64 v[35:36], v[92:93], v[136:137]
	v_fma_f64 v[90:91], v[86:87], v[134:135], -v[35:36]
	v_mul_f64 v[35:36], v[86:87], v[136:137]
	v_fma_f64 v[16:17], v[92:93], v[134:135], v[35:36]
	s_clause 0x1
	global_load_dwordx4 v[96:99], v37, s[12:13] offset:48
	global_load_dwordx4 v[134:137], v37, s[12:13] offset:32
	s_waitcnt vmcnt(1)
	v_mul_f64 v[35:36], v[94:95], v[98:99]
	v_fma_f64 v[20:21], v[88:89], v[96:97], -v[35:36]
	v_mul_f64 v[35:36], v[88:89], v[98:99]
	buffer_store_dword v20, off, s[28:31], 0 offset:528 ; 4-byte Folded Spill
	buffer_store_dword v21, off, s[28:31], 0 offset:532 ; 4-byte Folded Spill
	v_fma_f64 v[20:21], v[94:95], v[96:97], v[35:36]
	buffer_store_dword v20, off, s[28:31], 0 offset:456 ; 4-byte Folded Spill
	buffer_store_dword v21, off, s[28:31], 0 offset:460 ; 4-byte Folded Spill
	ds_read2_b64 v[86:89], v191 offset0:108 offset1:157
	s_clause 0x1
	global_load_dwordx4 v[92:95], v37, s[12:13] offset:80
	global_load_dwordx4 v[96:99], v37, s[12:13] offset:64
	s_waitcnt lgkmcnt(0)
	v_mul_f64 v[35:36], v[86:87], v[110:111]
	v_fma_f64 v[120:121], v[82:83], v[108:109], -v[35:36]
	v_mul_f64 v[35:36], v[82:83], v[110:111]
	v_mov_b32_e32 v111, v17
	v_mov_b32_e32 v110, v16
	v_fma_f64 v[118:119], v[86:87], v[108:109], v[35:36]
	v_mov_b32_e32 v108, v163
	v_mov_b32_e32 v109, v164
	s_waitcnt vmcnt(1)
	v_mul_f64 v[35:36], v[88:89], v[94:95]
	v_fma_f64 v[124:125], v[84:85], v[92:93], -v[35:36]
	v_mul_f64 v[35:36], v[84:85], v[94:95]
	ds_read2_b64 v[82:85], v230 offset0:106 offset1:155
	v_fma_f64 v[208:209], v[88:89], v[92:93], v[35:36]
	s_waitcnt lgkmcnt(0)
	v_mul_f64 v[35:36], v[82:83], v[104:105]
	v_fma_f64 v[116:117], v[78:79], v[102:103], -v[35:36]
	v_mul_f64 v[35:36], v[78:79], v[104:105]
	v_fma_f64 v[202:203], v[82:83], v[102:103], v[35:36]
	v_and_b32_e32 v35, 0xff, v146
	v_mul_lo_u16 v35, v35, 37
	v_lshrrev_b16 v35, 8, v35
	v_sub_nc_u16 v36, v146, v35
	v_lshrrev_b16 v36, 1, v36
	v_and_b32_e32 v36, 0x7f, v36
	v_add_nc_u16 v35, v36, v35
	v_lshrrev_b16 v78, 2, v35
	v_mul_lo_u16 v35, v78, 7
	v_sub_nc_u16 v79, v146, v35
	v_mul_u32_u24_sdwa v35, v79, v30 dst_sel:DWORD dst_unused:UNUSED_PAD src0_sel:BYTE_0 src1_sel:DWORD
	v_lshlrev_b32_e32 v37, 4, v35
	s_clause 0x1
	global_load_dwordx4 v[86:89], v37, s[12:13]
	global_load_dwordx4 v[92:95], v37, s[12:13] offset:16
	s_waitcnt vmcnt(1)
	v_mul_f64 v[35:36], v[84:85], v[88:89]
	v_fma_f64 v[20:21], v[80:81], v[86:87], -v[35:36]
	v_mul_f64 v[35:36], v[80:81], v[88:89]
	buffer_store_dword v20, off, s[28:31], 0 offset:352 ; 4-byte Folded Spill
	buffer_store_dword v21, off, s[28:31], 0 offset:356 ; 4-byte Folded Spill
	v_fma_f64 v[20:21], v[84:85], v[86:87], v[35:36]
	buffer_store_dword v20, off, s[28:31], 0 offset:320 ; 4-byte Folded Spill
	buffer_store_dword v21, off, s[28:31], 0 offset:324 ; 4-byte Folded Spill
	ds_read2_b64 v[80:83], v231 offset0:152 offset1:201
	s_clause 0x1
	global_load_dwordx4 v[84:87], v37, s[12:13] offset:32
	global_load_dwordx4 v[100:103], v37, s[12:13] offset:48
	s_waitcnt lgkmcnt(0)
	v_mul_f64 v[35:36], v[80:81], v[136:137]
	v_fma_f64 v[153:154], v[74:75], v[134:135], -v[35:36]
	v_mul_f64 v[35:36], v[74:75], v[136:137]
	v_mov_b32_e32 v136, v150
	v_mov_b32_e32 v137, v247
	v_fma_f64 v[250:251], v[80:81], v[134:135], v[35:36]
	v_mov_b32_e32 v134, v153
	v_mov_b32_e32 v135, v154
	;; [unrolled: 1-line block ×3, first 2 shown]
	s_waitcnt vmcnt(1)
	v_mul_f64 v[35:36], v[82:83], v[86:87]
	v_fma_f64 v[20:21], v[76:77], v[84:85], -v[35:36]
	v_mul_f64 v[35:36], v[76:77], v[86:87]
	buffer_store_dword v20, off, s[28:31], 0 offset:424 ; 4-byte Folded Spill
	buffer_store_dword v21, off, s[28:31], 0 offset:428 ; 4-byte Folded Spill
	v_fma_f64 v[20:21], v[82:83], v[84:85], v[35:36]
	buffer_store_dword v20, off, s[28:31], 0 offset:384 ; 4-byte Folded Spill
	buffer_store_dword v21, off, s[28:31], 0 offset:388 ; 4-byte Folded Spill
	ds_read2_b64 v[74:77], v190 offset0:70 offset1:119
	s_clause 0x1
	global_load_dwordx4 v[80:83], v37, s[12:13] offset:64
	global_load_dwordx4 v[84:87], v37, s[12:13] offset:80
	v_mov_b32_e32 v37, 0x2493
	s_waitcnt lgkmcnt(0)
	v_mul_f64 v[35:36], v[74:75], v[98:99]
	v_fma_f64 v[196:197], v[70:71], v[96:97], -v[35:36]
	v_mul_f64 v[35:36], v[70:71], v[98:99]
	v_fma_f64 v[20:21], v[74:75], v[96:97], v[35:36]
	v_mov_b32_e32 v225, v21
	v_mov_b32_e32 v224, v20
	s_waitcnt vmcnt(1)
	v_mul_f64 v[35:36], v[76:77], v[82:83]
	v_fma_f64 v[23:24], v[72:73], v[80:81], -v[35:36]
	v_mul_f64 v[35:36], v[72:73], v[82:83]
	buffer_store_dword v23, off, s[28:31], 0 offset:536 ; 4-byte Folded Spill
	buffer_store_dword v24, off, s[28:31], 0 offset:540 ; 4-byte Folded Spill
	v_fma_f64 v[23:24], v[76:77], v[80:81], v[35:36]
	buffer_store_dword v23, off, s[28:31], 0 offset:504 ; 4-byte Folded Spill
	buffer_store_dword v24, off, s[28:31], 0 offset:508 ; 4-byte Folded Spill
	ds_read2_b64 v[70:73], v205 offset0:114 offset1:163
	v_add_nc_u32_e32 v23, 0xf5, v242
	buffer_store_dword v23, off, s[28:31], 0 offset:208 ; 4-byte Folded Spill
	s_waitcnt lgkmcnt(0)
	v_mul_f64 v[35:36], v[70:71], v[94:95]
	v_fma_f64 v[96:97], v[66:67], v[92:93], -v[35:36]
	v_mul_f64 v[35:36], v[66:67], v[94:95]
	v_fma_f64 v[66:67], v[70:71], v[92:93], v[35:36]
	v_mul_u32_u24_sdwa v35, v23, v37 dst_sel:DWORD dst_unused:UNUSED_PAD src0_sel:WORD_0 src1_sel:DWORD
	v_lshrrev_b32_e32 v35, 16, v35
	v_sub_nc_u16 v36, v23, v35
	v_lshrrev_b16 v36, 1, v36
	v_add_nc_u16 v35, v36, v35
	v_lshrrev_b16 v194, 2, v35
	v_mul_lo_u16 v35, v194, 7
	v_sub_nc_u16 v159, v23, v35
	v_mul_u32_u24_sdwa v35, v159, v30 dst_sel:DWORD dst_unused:UNUSED_PAD src0_sel:WORD_0 src1_sel:DWORD
	v_lshlrev_b32_e32 v88, 4, v35
	s_clause 0x1
	global_load_dwordx4 v[74:77], v88, s[12:13] offset:16
	global_load_dwordx4 v[80:83], v88, s[12:13]
	s_waitcnt vmcnt(1)
	v_mul_f64 v[35:36], v[72:73], v[76:77]
	v_fma_f64 v[23:24], v[68:69], v[74:75], -v[35:36]
	v_mul_f64 v[35:36], v[68:69], v[76:77]
	buffer_store_dword v23, off, s[28:31], 0 offset:312 ; 4-byte Folded Spill
	buffer_store_dword v24, off, s[28:31], 0 offset:316 ; 4-byte Folded Spill
	v_fma_f64 v[23:24], v[72:73], v[74:75], v[35:36]
	buffer_store_dword v23, off, s[28:31], 0 offset:288 ; 4-byte Folded Spill
	buffer_store_dword v24, off, s[28:31], 0 offset:292 ; 4-byte Folded Spill
	ds_read2_b64 v[68:71], v247 offset0:32 offset1:81
	s_clause 0x1
	global_load_dwordx4 v[72:75], v88, s[12:13] offset:48
	global_load_dwordx4 v[92:95], v88, s[12:13] offset:32
	v_mov_b32_e32 v76, v208
	v_mov_b32_e32 v77, v209
	s_waitcnt lgkmcnt(0)
	v_mul_f64 v[35:36], v[68:69], v[102:103]
	v_fma_f64 v[176:177], v[62:63], v[100:101], -v[35:36]
	v_mul_f64 v[35:36], v[62:63], v[102:103]
	v_fma_f64 v[216:217], v[68:69], v[100:101], v[35:36]
	s_waitcnt vmcnt(1)
	v_mul_f64 v[35:36], v[70:71], v[74:75]
	v_fma_f64 v[23:24], v[64:65], v[72:73], -v[35:36]
	v_mul_f64 v[35:36], v[64:65], v[74:75]
	buffer_store_dword v23, off, s[28:31], 0 offset:368 ; 4-byte Folded Spill
	buffer_store_dword v24, off, s[28:31], 0 offset:372 ; 4-byte Folded Spill
	v_fma_f64 v[23:24], v[70:71], v[72:73], v[35:36]
	buffer_store_dword v23, off, s[28:31], 0 offset:328 ; 4-byte Folded Spill
	buffer_store_dword v24, off, s[28:31], 0 offset:332 ; 4-byte Folded Spill
	ds_read2_b64 v[62:65], v191 offset0:206 offset1:255
	s_clause 0x1
	global_load_dwordx4 v[68:71], v88, s[12:13] offset:80
	global_load_dwordx4 v[72:75], v88, s[12:13] offset:64
	s_waitcnt lgkmcnt(0)
	v_mul_f64 v[35:36], v[62:63], v[86:87]
	v_fma_f64 v[147:148], v[58:59], v[84:85], -v[35:36]
	v_mul_f64 v[35:36], v[58:59], v[86:87]
	v_mov_b32_e32 v86, v176
	v_mov_b32_e32 v87, v177
	v_fma_f64 v[28:29], v[62:63], v[84:85], v[35:36]
	s_waitcnt vmcnt(1)
	v_mul_f64 v[35:36], v[64:65], v[70:71]
	v_fma_f64 v[23:24], v[60:61], v[68:69], -v[35:36]
	v_mul_f64 v[35:36], v[60:61], v[70:71]
	buffer_store_dword v23, off, s[28:31], 0 offset:472 ; 4-byte Folded Spill
	buffer_store_dword v24, off, s[28:31], 0 offset:476 ; 4-byte Folded Spill
	v_fma_f64 v[23:24], v[64:65], v[68:69], v[35:36]
	buffer_store_dword v23, off, s[28:31], 0 offset:376 ; 4-byte Folded Spill
	buffer_store_dword v24, off, s[28:31], 0 offset:380 ; 4-byte Folded Spill
	ds_read2_b64 v[58:61], v233 offset0:76 offset1:125
	s_waitcnt lgkmcnt(0)
	v_mul_f64 v[35:36], v[58:59], v[82:83]
	v_fma_f64 v[23:24], v[54:55], v[80:81], -v[35:36]
	v_mul_f64 v[35:36], v[54:55], v[82:83]
	buffer_store_dword v23, off, s[28:31], 0 offset:520 ; 4-byte Folded Spill
	buffer_store_dword v24, off, s[28:31], 0 offset:524 ; 4-byte Folded Spill
	v_add_nc_u32_e32 v23, 0x126, v242
	v_fma_f64 v[80:81], v[58:59], v[80:81], v[35:36]
	v_mov_b32_e32 v82, v96
	v_mov_b32_e32 v83, v97
	v_mul_u32_u24_sdwa v35, v23, v37 dst_sel:DWORD dst_unused:UNUSED_PAD src0_sel:WORD_0 src1_sel:DWORD
	buffer_store_dword v23, off, s[28:31], 0 ; 4-byte Folded Spill
	v_lshrrev_b32_e32 v35, 16, v35
	v_sub_nc_u16 v36, v23, v35
	v_lshrrev_b16 v36, 1, v36
	v_add_nc_u16 v35, v36, v35
	v_lshrrev_b16 v25, 2, v35
	v_mul_lo_u16 v35, v25, 7
	v_sub_nc_u16 v204, v23, v35
	v_mul_u32_u24_sdwa v30, v204, v30 dst_sel:DWORD dst_unused:UNUSED_PAD src0_sel:WORD_0 src1_sel:DWORD
	v_lshlrev_b32_e32 v30, 4, v30
	s_clause 0x1
	global_load_dwordx4 v[62:65], v30, s[12:13]
	global_load_dwordx4 v[68:71], v30, s[12:13] offset:16
	s_waitcnt vmcnt(1)
	v_mul_f64 v[35:36], v[60:61], v[64:65]
	v_fma_f64 v[23:24], v[56:57], v[62:63], -v[35:36]
	v_mul_f64 v[35:36], v[56:57], v[64:65]
	buffer_store_dword v23, off, s[28:31], 0 offset:304 ; 4-byte Folded Spill
	buffer_store_dword v24, off, s[28:31], 0 offset:308 ; 4-byte Folded Spill
	v_fma_f64 v[23:24], v[60:61], v[62:63], v[35:36]
	buffer_store_dword v23, off, s[28:31], 0 offset:280 ; 4-byte Folded Spill
	buffer_store_dword v24, off, s[28:31], 0 offset:284 ; 4-byte Folded Spill
	ds_read2_b64 v[58:61], v195 offset0:84 offset1:133
	s_waitcnt lgkmcnt(0)
	v_mul_f64 v[35:36], v[60:61], v[254:255]
	v_fma_f64 v[234:235], v[48:49], v[252:253], -v[35:36]
	v_mul_f64 v[35:36], v[48:49], v[254:255]
	v_fma_f64 v[240:241], v[60:61], v[252:253], v[35:36]
	s_waitcnt vmcnt(0)
	v_mul_f64 v[35:36], v[58:59], v[70:71]
	v_fma_f64 v[23:24], v[46:47], v[68:69], -v[35:36]
	v_mul_f64 v[35:36], v[46:47], v[70:71]
	buffer_store_dword v23, off, s[28:31], 0 offset:336 ; 4-byte Folded Spill
	buffer_store_dword v24, off, s[28:31], 0 offset:340 ; 4-byte Folded Spill
	v_fma_f64 v[23:24], v[58:59], v[68:69], v[35:36]
	buffer_store_dword v23, off, s[28:31], 0 offset:296 ; 4-byte Folded Spill
	buffer_store_dword v24, off, s[28:31], 0 offset:300 ; 4-byte Folded Spill
	ds_read2_b64 v[58:61], v150 offset0:122 offset1:171
	s_clause 0x1
	global_load_dwordx4 v[62:65], v30, s[12:13] offset:32
	global_load_dwordx4 v[68:71], v30, s[12:13] offset:48
	s_waitcnt lgkmcnt(0)
	v_mul_f64 v[35:36], v[58:59], v[94:95]
	v_fma_f64 v[46:47], v[50:51], v[92:93], -v[35:36]
	v_mul_f64 v[35:36], v[50:51], v[94:95]
	v_fma_f64 v[54:55], v[58:59], v[92:93], v[35:36]
	v_mov_b32_e32 v92, v250
	v_mov_b32_e32 v93, v251
	s_waitcnt vmcnt(1)
	v_mul_f64 v[35:36], v[60:61], v[64:65]
	v_fma_f64 v[252:253], v[52:53], v[62:63], -v[35:36]
	v_mul_f64 v[35:36], v[52:53], v[64:65]
	v_fma_f64 v[23:24], v[60:61], v[62:63], v[35:36]
	buffer_store_dword v23, off, s[28:31], 0 offset:344 ; 4-byte Folded Spill
	buffer_store_dword v24, off, s[28:31], 0 offset:348 ; 4-byte Folded Spill
	ds_read2_b64 v[50:53], v247 offset0:130 offset1:179
	s_waitcnt lgkmcnt(0)
	v_mul_f64 v[35:36], v[52:53], v[2:3]
	v_mul_f64 v[2:3], v[40:41], v[2:3]
	v_fma_f64 v[130:131], v[40:41], v[0:1], -v[35:36]
	v_fma_f64 v[36:37], v[52:53], v[0:1], v[2:3]
	s_waitcnt vmcnt(0)
	v_mul_f64 v[0:1], v[50:51], v[70:71]
	v_fma_f64 v[0:1], v[38:39], v[68:69], -v[0:1]
	buffer_store_dword v0, off, s[28:31], 0 offset:488 ; 4-byte Folded Spill
	buffer_store_dword v1, off, s[28:31], 0 offset:492 ; 4-byte Folded Spill
	v_mul_f64 v[0:1], v[38:39], v[70:71]
	v_fma_f64 v[0:1], v[50:51], v[68:69], v[0:1]
	buffer_store_dword v0, off, s[28:31], 0 offset:392 ; 4-byte Folded Spill
	buffer_store_dword v1, off, s[28:31], 0 offset:396 ; 4-byte Folded Spill
	ds_read2_b64 v[0:3], v190 offset0:168 offset1:217
	v_mov_b32_e32 v68, 0x188
	v_mov_b32_e32 v69, 3
	s_waitcnt lgkmcnt(0)
	v_mul_f64 v[38:39], v[0:1], v[74:75]
	v_fma_f64 v[231:232], v[42:43], v[72:73], -v[38:39]
	v_mul_f64 v[38:39], v[42:43], v[74:75]
	v_mov_b32_e32 v74, v202
	v_mov_b32_e32 v75, v203
	v_fma_f64 v[227:228], v[0:1], v[72:73], v[38:39]
	s_clause 0x1
	global_load_dwordx4 v[38:41], v30, s[12:13] offset:64
	global_load_dwordx4 v[50:53], v30, s[12:13] offset:80
	ds_read2_b64 v[218:221], v149 offset0:38 offset1:87
	s_waitcnt vmcnt(1)
	v_mul_f64 v[0:1], v[2:3], v[40:41]
	v_fma_f64 v[222:223], v[44:45], v[38:39], -v[0:1]
	v_mul_f64 v[0:1], v[44:45], v[40:41]
	v_add_f64 v[40:41], v[188:189], -v[36:37]
	v_fma_f64 v[254:255], v[2:3], v[38:39], v[0:1]
	ds_read_b64 v[0:1], v155 offset:18816
	s_waitcnt vmcnt(0) lgkmcnt(0)
	v_mul_f64 v[2:3], v[0:1], v[52:53]
	v_fma_f64 v[48:49], v[26:27], v[50:51], -v[2:3]
	v_mul_f64 v[2:3], v[26:27], v[52:53]
	v_mov_b32_e32 v26, v149
	v_mov_b32_e32 v150, v145
	;; [unrolled: 1-line block ×5, first 2 shown]
	v_fma_f64 v[238:239], v[0:1], v[50:51], v[2:3]
	v_mul_f64 v[0:1], v[220:221], v[33:34]
	v_mov_b32_e32 v16, v238
	v_fma_f64 v[23:24], v[6:7], v[31:32], -v[0:1]
	v_mul_f64 v[0:1], v[6:7], v[33:34]
	v_mov_b32_e32 v17, v239
	v_fma_f64 v[6:7], v[220:221], v[31:32], v[0:1]
	buffer_load_dword v0, off, s[28:31], 0 offset:16 ; 4-byte Folded Reload
	v_add_f64 v[30:31], v[23:24], v[236:237]
	v_add_f64 v[32:33], v[245:246], v[130:131]
	v_lshlrev_b32_sdwa v1, v69, v170 dst_sel:DWORD dst_unused:UNUSED_PAD src0_sel:DWORD src1_sel:BYTE_0
	v_mov_b32_e32 v221, v148
	v_mov_b32_e32 v220, v147
	v_add_f64 v[42:43], v[6:7], -v[156:157]
	v_add_f64 v[2:3], v[32:33], v[30:31]
	s_waitcnt vmcnt(0)
	v_mul_u32_u24_sdwa v0, v0, v68 dst_sel:DWORD dst_unused:UNUSED_PAD src0_sel:WORD_0 src1_sel:DWORD
	v_add3_u32 v162, 0, v0, v1
	v_add_f64 v[0:1], v[234:235], v[182:183]
	v_add_f64 v[2:3], v[0:1], v[2:3]
	v_add_f64 v[34:35], v[30:31], -v[0:1]
	v_add_f64 v[38:39], v[0:1], -v[32:33]
	;; [unrolled: 1-line block ×4, first 2 shown]
	v_add_f64 v[12:13], v[12:13], v[2:3]
	v_mul_f64 v[34:35], v[34:35], s[2:3]
	v_mul_f64 v[32:33], v[38:39], s[14:15]
	v_add_f64 v[44:45], v[0:1], -v[40:41]
	v_add_f64 v[50:51], v[0:1], v[40:41]
	v_add_f64 v[52:53], v[42:43], -v[0:1]
	v_fma_f64 v[58:59], v[2:3], s[4:5], v[12:13]
	v_fma_f64 v[0:1], v[38:39], s[14:15], v[34:35]
	v_fma_f64 v[32:33], v[30:31], s[18:19], -v[32:33]
	v_mul_f64 v[44:45], v[44:45], s[8:9]
	v_add_f64 v[50:51], v[50:51], v[42:43]
	v_fma_f64 v[30:31], v[30:31], s[22:23], -v[34:35]
	v_add_f64 v[60:61], v[0:1], v[58:59]
	v_add_f64 v[32:33], v[32:33], v[58:59]
	v_fma_f64 v[0:1], v[52:53], s[6:7], v[44:45]
	v_add_f64 v[30:31], v[30:31], v[58:59]
	v_fma_f64 v[62:63], v[50:51], s[0:1], v[0:1]
	ds_read2_b64 v[0:3], v155 offset1:49
	ds_read2_b64 v[102:105], v155 offset0:98 offset1:147
	ds_read2_b64 v[98:101], v155 offset0:196 offset1:245
	s_waitcnt lgkmcnt(0)
	s_waitcnt_vscnt null, 0x0
	s_barrier
	buffer_gl0_inv
	v_add_f64 v[64:65], v[62:63], v[60:61]
	ds_write2_b64 v162, v[12:13], v[64:65] offset1:7
	v_add_f64 v[12:13], v[40:41], -v[42:43]
	v_add_f64 v[42:43], v[165:166], -v[128:129]
	v_mov_b32_e32 v64, v216
	v_mov_b32_e32 v65, v217
	v_add_f64 v[128:129], v[128:129], v[165:166]
	v_mul_f64 v[34:35], v[12:13], s[16:17]
	v_fma_f64 v[12:13], v[12:13], s[16:17], -v[44:45]
	v_add_f64 v[44:45], v[126:127], -v[114:115]
	v_fma_f64 v[34:35], v[52:53], s[20:21], -v[34:35]
	v_fma_f64 v[12:13], v[50:51], s[0:1], v[12:13]
	v_fma_f64 v[34:35], v[50:51], s[0:1], v[34:35]
	v_add_f64 v[40:41], v[32:33], -v[12:13]
	v_add_f64 v[12:13], v[12:13], v[32:33]
	v_add_f64 v[32:33], v[186:187], v[210:211]
	;; [unrolled: 1-line block ×3, first 2 shown]
	v_add_f64 v[30:31], v[30:31], -v[34:35]
	v_add_f64 v[34:35], v[160:161], v[167:168]
	ds_write2_b64 v162, v[38:39], v[40:41] offset0:14 offset1:21
	ds_write2_b64 v162, v[12:13], v[30:31] offset0:28 offset1:35
	v_add_f64 v[30:31], v[138:139], v[184:185]
	v_add_f64 v[12:13], v[60:61], -v[62:63]
	v_add_f64 v[40:41], v[178:179], -v[122:123]
	v_add_f64 v[122:123], v[178:179], v[122:123]
	v_add_f64 v[38:39], v[32:33], v[30:31]
	ds_write_b64 v162, v[12:13] offset:336
	v_mul_u32_u24_sdwa v12, v181, v68 dst_sel:DWORD dst_unused:UNUSED_PAD src0_sel:WORD_0 src1_sel:DWORD
	v_lshlrev_b32_sdwa v13, v69, v180 dst_sel:DWORD dst_unused:UNUSED_PAD src0_sel:DWORD src1_sel:BYTE_0
	v_add_f64 v[50:51], v[42:43], -v[40:41]
	v_add_f64 v[52:53], v[42:43], v[40:41]
	v_add_f64 v[42:43], v[44:45], -v[42:43]
	v_add_f64 v[180:181], v[6:7], v[156:157]
	v_add3_u32 v248, 0, v12, v13
	v_add_f64 v[12:13], v[30:31], -v[34:35]
	v_add_f64 v[30:31], v[32:33], -v[30:31]
	;; [unrolled: 1-line block ×4, first 2 shown]
	v_add_f64 v[38:39], v[34:35], v[38:39]
	v_add_f64 v[34:35], v[34:35], -v[32:33]
	v_mul_f64 v[50:51], v[50:51], s[8:9]
	v_add_f64 v[52:53], v[52:53], v[44:45]
	v_mul_f64 v[12:13], v[12:13], s[2:3]
	v_add_f64 v[236:237], v[182:183], -v[6:7]
	v_add_f64 v[14:15], v[14:15], v[38:39]
	v_mul_f64 v[32:33], v[34:35], s[14:15]
	v_fma_f64 v[60:61], v[42:43], s[6:7], v[50:51]
	v_fma_f64 v[58:59], v[34:35], s[14:15], v[12:13]
	v_fma_f64 v[12:13], v[30:31], s[22:23], -v[12:13]
	v_fma_f64 v[38:39], v[38:39], s[4:5], v[14:15]
	v_fma_f64 v[32:33], v[30:31], s[18:19], -v[32:33]
	v_fma_f64 v[60:61], v[52:53], s[0:1], v[60:61]
	v_add_f64 v[58:59], v[58:59], v[38:39]
	v_add_f64 v[32:33], v[32:33], v[38:39]
	;; [unrolled: 1-line block ×4, first 2 shown]
	ds_write2_b64 v248, v[14:15], v[62:63] offset1:7
	v_add_f64 v[14:15], v[40:41], -v[44:45]
	v_fma_f64 v[30:31], v[14:15], s[16:17], -v[50:51]
	v_mul_f64 v[14:15], v[14:15], s[16:17]
	v_fma_f64 v[30:31], v[52:53], s[0:1], v[30:31]
	v_fma_f64 v[14:15], v[42:43], s[20:21], -v[14:15]
	v_add_f64 v[34:35], v[32:33], -v[30:31]
	v_fma_f64 v[14:15], v[52:53], s[0:1], v[14:15]
	v_add_f64 v[30:31], v[30:31], v[32:33]
	v_add_f64 v[38:39], v[14:15], v[12:13]
	v_add_f64 v[12:13], v[12:13], -v[14:15]
	v_add_f64 v[14:15], v[140:141], v[142:143]
	ds_write2_b64 v248, v[38:39], v[34:35] offset0:14 offset1:21
	ds_write2_b64 v248, v[30:31], v[12:13] offset0:28 offset1:35
	v_add_f64 v[12:13], v[58:59], -v[60:61]
	v_add_f64 v[30:31], v[149:150], v[144:145]
	v_add_f64 v[38:39], v[172:173], -v[108:109]
	ds_write_b64 v248, v[12:13] offset:336
	s_clause 0x3
	buffer_load_dword v206, off, s[28:31], 0 offset:512
	buffer_load_dword v207, off, s[28:31], 0 offset:516
	;; [unrolled: 1-line block ×4, first 2 shown]
	v_lshlrev_b32_sdwa v13, v69, v152 dst_sel:DWORD dst_unused:UNUSED_PAD src0_sel:DWORD src1_sel:BYTE_0
	v_mov_b32_e32 v152, v121
	v_mul_u32_u24_sdwa v12, v22, v68 dst_sel:DWORD dst_unused:UNUSED_PAD src0_sel:WORD_0 src1_sel:DWORD
	v_mov_b32_e32 v151, v120
	v_mov_b32_e32 v120, v196
	;; [unrolled: 1-line block ×3, first 2 shown]
	v_add3_u32 v249, 0, v12, v13
	v_add_f64 v[12:13], v[174:175], v[151:152]
	v_add_f64 v[32:33], v[14:15], v[12:13]
	v_add_f64 v[34:35], v[12:13], -v[30:31]
	v_add_f64 v[32:33], v[30:31], v[32:33]
	v_add_f64 v[30:31], v[30:31], -v[14:15]
	v_mul_f64 v[34:35], v[34:35], s[2:3]
	v_add_f64 v[8:9], v[8:9], v[32:33]
	v_fma_f64 v[52:53], v[30:31], s[14:15], v[34:35]
	v_fma_f64 v[32:33], v[32:33], s[4:5], v[8:9]
	v_add_f64 v[52:53], v[52:53], v[32:33]
	s_waitcnt vmcnt(2)
	v_add_f64 v[40:41], v[110:111], -v[206:207]
	s_waitcnt vmcnt(0)
	v_add_f64 v[42:43], v[112:113], -v[118:119]
	v_add_f64 v[50:51], v[40:41], -v[38:39]
	v_add_f64 v[44:45], v[40:41], v[38:39]
	v_add_f64 v[40:41], v[42:43], -v[40:41]
	v_mul_f64 v[50:51], v[50:51], s[8:9]
	v_add_f64 v[44:45], v[44:45], v[42:43]
	v_fma_f64 v[58:59], v[40:41], s[6:7], v[50:51]
	v_fma_f64 v[58:59], v[44:45], s[0:1], v[58:59]
	v_add_f64 v[60:61], v[58:59], v[52:53]
	ds_write2_b64 v249, v[8:9], v[60:61] offset1:7
	v_add_f64 v[8:9], v[14:15], -v[12:13]
	v_add_f64 v[12:13], v[38:39], -v[42:43]
	v_mul_f64 v[14:15], v[30:31], s[14:15]
	v_fma_f64 v[30:31], v[12:13], s[16:17], -v[50:51]
	v_mul_f64 v[12:13], v[12:13], s[16:17]
	v_fma_f64 v[14:15], v[8:9], s[18:19], -v[14:15]
	v_fma_f64 v[8:9], v[8:9], s[22:23], -v[34:35]
	v_fma_f64 v[30:31], v[44:45], s[0:1], v[30:31]
	v_fma_f64 v[12:13], v[40:41], s[20:21], -v[12:13]
	v_add_f64 v[14:15], v[14:15], v[32:33]
	v_add_f64 v[8:9], v[8:9], v[32:33]
	v_add_f64 v[40:41], v[74:75], -v[76:77]
	v_fma_f64 v[12:13], v[44:45], s[0:1], v[12:13]
	v_add_f64 v[32:33], v[14:15], -v[30:31]
	v_add_f64 v[14:15], v[30:31], v[14:15]
	v_add_f64 v[34:35], v[12:13], v[8:9]
	v_add_f64 v[8:9], v[8:9], -v[12:13]
	v_add_f64 v[12:13], v[116:117], v[124:125]
	ds_write2_b64 v249, v[34:35], v[32:33] offset0:14 offset1:21
	ds_write2_b64 v249, v[14:15], v[8:9] offset0:28 offset1:35
	v_add_f64 v[8:9], v[52:53], -v[58:59]
	s_clause 0x3
	buffer_load_dword v132, off, s[28:31], 0 offset:440
	buffer_load_dword v133, off, s[28:31], 0 offset:444
	;; [unrolled: 1-line block ×4, first 2 shown]
	ds_write_b64 v249, v[8:9] offset:336
	s_clause 0x3
	buffer_load_dword v88, off, s[28:31], 0 offset:360
	buffer_load_dword v89, off, s[28:31], 0 offset:364
	;; [unrolled: 1-line block ×4, first 2 shown]
	v_mul_u32_u24_sdwa v8, v169, v68 dst_sel:DWORD dst_unused:UNUSED_PAD src0_sel:WORD_0 src1_sel:DWORD
	v_lshlrev_b32_sdwa v9, v69, v19 dst_sel:DWORD dst_unused:UNUSED_PAD src0_sel:DWORD src1_sel:BYTE_0
	v_add3_u32 v196, 0, v8, v9
	s_waitcnt vmcnt(6)
	v_add_f64 v[14:15], v[132:133], v[120:121]
	s_waitcnt vmcnt(4)
	v_add_f64 v[30:31], v[134:135], v[229:230]
	v_add_f64 v[32:33], v[14:15], v[12:13]
	s_waitcnt vmcnt(2)
	v_add_f64 v[34:35], v[88:89], -v[224:225]
	s_waitcnt vmcnt(0)
	v_add_f64 v[38:39], v[94:95], -v[92:93]
	v_add_f64 v[8:9], v[12:13], -v[30:31]
	v_add_f64 v[32:33], v[30:31], v[32:33]
	v_add_f64 v[30:31], v[30:31], -v[14:15]
	v_add_f64 v[42:43], v[38:39], -v[34:35]
	v_mul_f64 v[8:9], v[8:9], s[2:3]
	v_add_f64 v[44:45], v[38:39], v[34:35]
	v_add_f64 v[38:39], v[40:41], -v[38:39]
	v_add_f64 v[10:11], v[10:11], v[32:33]
	v_mul_f64 v[42:43], v[42:43], s[8:9]
	v_fma_f64 v[50:51], v[30:31], s[14:15], v[8:9]
	v_add_f64 v[44:45], v[44:45], v[40:41]
	v_fma_f64 v[32:33], v[32:33], s[4:5], v[10:11]
	v_fma_f64 v[52:53], v[38:39], s[6:7], v[42:43]
	v_add_f64 v[50:51], v[50:51], v[32:33]
	v_fma_f64 v[52:53], v[44:45], s[0:1], v[52:53]
	v_add_f64 v[58:59], v[52:53], v[50:51]
	ds_write2_b64 v196, v[10:11], v[58:59] offset1:7
	v_add_f64 v[10:11], v[14:15], -v[12:13]
	v_add_f64 v[12:13], v[34:35], -v[40:41]
	v_mul_f64 v[14:15], v[30:31], s[14:15]
	v_fma_f64 v[8:9], v[10:11], s[22:23], -v[8:9]
	v_fma_f64 v[14:15], v[10:11], s[18:19], -v[14:15]
	v_mul_f64 v[10:11], v[12:13], s[16:17]
	v_fma_f64 v[12:13], v[12:13], s[16:17], -v[42:43]
	v_add_f64 v[8:9], v[8:9], v[32:33]
	v_add_f64 v[14:15], v[14:15], v[32:33]
	v_fma_f64 v[10:11], v[38:39], s[20:21], -v[10:11]
	v_fma_f64 v[12:13], v[44:45], s[0:1], v[12:13]
	v_fma_f64 v[10:11], v[44:45], s[0:1], v[10:11]
	v_add_f64 v[32:33], v[14:15], -v[12:13]
	v_add_f64 v[12:13], v[12:13], v[14:15]
	v_add_f64 v[30:31], v[10:11], v[8:9]
	v_add_f64 v[8:9], v[8:9], -v[10:11]
	ds_write2_b64 v196, v[30:31], v[32:33] offset0:14 offset1:21
	ds_write2_b64 v196, v[12:13], v[8:9] offset0:28 offset1:35
	v_add_f64 v[8:9], v[50:51], -v[52:53]
	ds_write_b64 v196, v[8:9] offset:336
	s_clause 0xb
	buffer_load_dword v106, off, s[28:31], 0 offset:352
	buffer_load_dword v107, off, s[28:31], 0 offset:356
	;; [unrolled: 1-line block ×12, first 2 shown]
	v_mul_u32_u24_sdwa v8, v78, v68 dst_sel:DWORD dst_unused:UNUSED_PAD src0_sel:WORD_0 src1_sel:DWORD
	v_lshlrev_b32_sdwa v9, v69, v79 dst_sel:DWORD dst_unused:UNUSED_PAD src0_sel:DWORD src1_sel:BYTE_0
	v_add3_u32 v197, 0, v8, v9
	s_waitcnt vmcnt(10)
	v_add_f64 v[8:9], v[106:107], v[220:221]
	s_waitcnt vmcnt(8)
	v_add_f64 v[10:11], v[82:83], v[84:85]
	s_waitcnt vmcnt(6)
	v_add_f64 v[12:13], v[90:91], v[86:87]
	s_waitcnt vmcnt(4)
	v_add_f64 v[32:33], v[66:67], -v[250:251]
	s_waitcnt vmcnt(2)
	v_add_f64 v[34:35], v[64:65], -v[70:71]
	;; [unrolled: 2-line block ×3, first 2 shown]
	v_add_f64 v[14:15], v[10:11], v[8:9]
	v_add_f64 v[30:31], v[8:9], -v[12:13]
	v_add_f64 v[8:9], v[10:11], -v[8:9]
	;; [unrolled: 1-line block ×3, first 2 shown]
	v_add_f64 v[40:41], v[34:35], v[32:33]
	v_add_f64 v[34:35], v[38:39], -v[34:35]
	v_add_f64 v[14:15], v[12:13], v[14:15]
	v_add_f64 v[12:13], v[12:13], -v[10:11]
	v_mul_f64 v[30:31], v[30:31], s[2:3]
	v_mul_f64 v[42:43], v[42:43], s[8:9]
	v_add_f64 v[10:11], v[32:33], -v[38:39]
	v_add_f64 v[40:41], v[40:41], v[38:39]
	v_add_f64 v[44:45], v[212:213], v[14:15]
	;; [unrolled: 1-line block ×3, first 2 shown]
	v_fma_f64 v[50:51], v[12:13], s[14:15], v[30:31]
	v_mul_f64 v[12:13], v[12:13], s[14:15]
	v_fma_f64 v[52:53], v[34:35], s[6:7], v[42:43]
	v_fma_f64 v[14:15], v[14:15], s[4:5], v[44:45]
	v_fma_f64 v[12:13], v[8:9], s[18:19], -v[12:13]
	v_fma_f64 v[8:9], v[8:9], s[22:23], -v[30:31]
	;; [unrolled: 1-line block ×3, first 2 shown]
	v_mul_f64 v[10:11], v[10:11], s[16:17]
	v_fma_f64 v[52:53], v[40:41], s[0:1], v[52:53]
	v_add_f64 v[50:51], v[50:51], v[14:15]
	v_add_f64 v[12:13], v[12:13], v[14:15]
	;; [unrolled: 1-line block ×3, first 2 shown]
	v_fma_f64 v[14:15], v[40:41], s[0:1], v[30:31]
	v_fma_f64 v[10:11], v[34:35], s[20:21], -v[10:11]
	v_add_f64 v[58:59], v[52:53], v[50:51]
	v_add_f64 v[30:31], v[12:13], -v[14:15]
	v_fma_f64 v[10:11], v[40:41], s[0:1], v[10:11]
	v_add_f64 v[12:13], v[14:15], v[12:13]
	ds_write2_b64 v197, v[44:45], v[58:59] offset1:7
	v_add_f64 v[32:33], v[10:11], v[8:9]
	v_add_f64 v[8:9], v[8:9], -v[10:11]
	ds_write2_b64 v197, v[32:33], v[30:31] offset0:14 offset1:21
	ds_write2_b64 v197, v[12:13], v[8:9] offset0:28 offset1:35
	v_add_f64 v[8:9], v[50:51], -v[52:53]
	s_clause 0x7
	buffer_load_dword v78, off, s[28:31], 0 offset:472
	buffer_load_dword v79, off, s[28:31], 0 offset:476
	;; [unrolled: 1-line block ×8, first 2 shown]
	ds_write_b64 v197, v[8:9] offset:336
	s_clause 0x5
	buffer_load_dword v208, off, s[28:31], 0 offset:288
	buffer_load_dword v209, off, s[28:31], 0 offset:292
	;; [unrolled: 1-line block ×6, first 2 shown]
	v_mul_u32_u24_sdwa v8, v194, v68 dst_sel:DWORD dst_unused:UNUSED_PAD src0_sel:WORD_0 src1_sel:DWORD
	v_lshlrev_b32_sdwa v9, v69, v159 dst_sel:DWORD dst_unused:UNUSED_PAD src0_sel:DWORD src1_sel:WORD_0
	v_add3_u32 v153, 0, v8, v9
	s_waitcnt vmcnt(10)
	v_add_f64 v[10:11], v[72:73], v[78:79]
	s_waitcnt vmcnt(8)
	v_add_f64 v[12:13], v[96:97], v[231:232]
	;; [unrolled: 2-line block ×3, first 2 shown]
	s_waitcnt vmcnt(4)
	v_add_f64 v[34:35], v[208:209], -v[227:228]
	v_add_f64 v[30:31], v[12:13], v[10:11]
	v_add_f64 v[8:9], v[10:11], -v[14:15]
	s_waitcnt vmcnt(2)
	v_add_f64 v[38:39], v[19:20], -v[54:55]
	s_waitcnt vmcnt(0)
	v_add_f64 v[40:41], v[80:81], -v[176:177]
	v_add_f64 v[10:11], v[12:13], -v[10:11]
	v_add_f64 v[30:31], v[14:15], v[30:31]
	v_add_f64 v[14:15], v[14:15], -v[12:13]
	v_mul_f64 v[8:9], v[8:9], s[2:3]
	v_add_f64 v[44:45], v[38:39], -v[34:35]
	v_add_f64 v[42:43], v[38:39], v[34:35]
	v_add_f64 v[38:39], v[40:41], -v[38:39]
	v_add_f64 v[12:13], v[34:35], -v[40:41]
	v_add_f64 v[32:33], v[214:215], v[30:31]
	v_add_f64 v[214:215], v[245:246], -v[130:131]
	v_fma_f64 v[50:51], v[14:15], s[14:15], v[8:9]
	v_mul_f64 v[44:45], v[44:45], s[8:9]
	v_mul_f64 v[14:15], v[14:15], s[14:15]
	v_add_f64 v[42:43], v[42:43], v[40:41]
	v_fma_f64 v[8:9], v[10:11], s[22:23], -v[8:9]
	v_mov_b32_e32 v130, v233
	v_mov_b32_e32 v131, v26
	v_fma_f64 v[30:31], v[30:31], s[4:5], v[32:33]
	v_fma_f64 v[52:53], v[38:39], s[6:7], v[44:45]
	v_fma_f64 v[14:15], v[10:11], s[18:19], -v[14:15]
	v_mul_f64 v[10:11], v[12:13], s[16:17]
	v_fma_f64 v[12:13], v[12:13], s[16:17], -v[44:45]
	v_add_f64 v[50:51], v[50:51], v[30:31]
	v_add_f64 v[8:9], v[8:9], v[30:31]
	v_fma_f64 v[52:53], v[42:43], s[0:1], v[52:53]
	v_add_f64 v[14:15], v[14:15], v[30:31]
	v_fma_f64 v[10:11], v[38:39], s[20:21], -v[10:11]
	v_fma_f64 v[12:13], v[42:43], s[0:1], v[12:13]
	v_add_f64 v[58:59], v[52:53], v[50:51]
	v_fma_f64 v[10:11], v[42:43], s[0:1], v[10:11]
	ds_write2_b64 v153, v[32:33], v[58:59] offset1:7
	v_add_f64 v[32:33], v[14:15], -v[12:13]
	v_add_f64 v[30:31], v[10:11], v[8:9]
	v_add_f64 v[12:13], v[12:13], v[14:15]
	v_add_f64 v[8:9], v[8:9], -v[10:11]
	ds_write2_b64 v153, v[30:31], v[32:33] offset0:14 offset1:21
	ds_write2_b64 v153, v[12:13], v[8:9] offset0:28 offset1:35
	v_add_f64 v[8:9], v[50:51], -v[52:53]
	s_clause 0x5
	buffer_load_dword v56, off, s[28:31], 0 offset:304
	buffer_load_dword v57, off, s[28:31], 0 offset:308
	;; [unrolled: 1-line block ×6, first 2 shown]
	ds_write_b64 v153, v[8:9] offset:336
	v_mul_u32_u24_sdwa v8, v25, v68 dst_sel:DWORD dst_unused:UNUSED_PAD src0_sel:WORD_0 src1_sel:DWORD
	v_lshlrev_b32_sdwa v9, v69, v204 dst_sel:DWORD dst_unused:UNUSED_PAD src0_sel:DWORD src1_sel:WORD_0
	v_mov_b32_e32 v68, v254
	s_clause 0x1
	buffer_load_dword v58, off, s[28:31], 0 offset:296
	buffer_load_dword v59, off, s[28:31], 0 offset:300
	v_mov_b32_e32 v69, v255
	s_clause 0x5
	buffer_load_dword v147, off, s[28:31], 0 offset:344
	buffer_load_dword v148, off, s[28:31], 0 offset:348
	;; [unrolled: 1-line block ×6, first 2 shown]
	v_add3_u32 v170, 0, v8, v9
	v_mov_b32_e32 v204, v242
	s_waitcnt vmcnt(12)
	v_add_f64 v[10:11], v[56:57], v[48:49]
	s_waitcnt vmcnt(10)
	v_add_f64 v[12:13], v[62:63], v[222:223]
	;; [unrolled: 2-line block ×3, first 2 shown]
	v_add_f64 v[30:31], v[12:13], v[10:11]
	v_add_f64 v[8:9], v[10:11], -v[14:15]
	s_waitcnt vmcnt(6)
	v_add_f64 v[32:33], v[58:59], -v[68:69]
	s_waitcnt vmcnt(2)
	;; [unrolled: 2-line block ×3, first 2 shown]
	v_add_f64 v[38:39], v[216:217], -v[16:17]
	v_add_f64 v[30:31], v[14:15], v[30:31]
	v_add_f64 v[14:15], v[14:15], -v[12:13]
	v_mul_f64 v[8:9], v[8:9], s[2:3]
	v_add_f64 v[42:43], v[34:35], -v[32:33]
	v_add_f64 v[40:41], v[34:35], v[32:33]
	v_add_f64 v[34:35], v[38:39], -v[34:35]
	v_add_f64 v[4:5], v[4:5], v[30:31]
	v_fma_f64 v[44:45], v[14:15], s[14:15], v[8:9]
	v_mul_f64 v[42:43], v[42:43], s[8:9]
	v_add_f64 v[40:41], v[40:41], v[38:39]
	v_fma_f64 v[30:31], v[30:31], s[4:5], v[4:5]
	v_fma_f64 v[50:51], v[34:35], s[6:7], v[42:43]
	v_add_f64 v[44:45], v[44:45], v[30:31]
	v_fma_f64 v[50:51], v[40:41], s[0:1], v[50:51]
	v_add_f64 v[52:53], v[50:51], v[44:45]
	ds_write2_b64 v170, v[4:5], v[52:53] offset1:7
	v_add_f64 v[4:5], v[12:13], -v[10:11]
	v_add_f64 v[10:11], v[32:33], -v[38:39]
	v_mul_f64 v[12:13], v[14:15], s[14:15]
	v_fma_f64 v[12:13], v[4:5], s[18:19], -v[12:13]
	v_fma_f64 v[4:5], v[4:5], s[22:23], -v[8:9]
	v_mul_f64 v[8:9], v[10:11], s[16:17]
	v_fma_f64 v[10:11], v[10:11], s[16:17], -v[42:43]
	v_add_f64 v[12:13], v[12:13], v[30:31]
	v_add_f64 v[4:5], v[4:5], v[30:31]
	v_fma_f64 v[8:9], v[34:35], s[20:21], -v[8:9]
	v_fma_f64 v[10:11], v[40:41], s[0:1], v[10:11]
	v_fma_f64 v[8:9], v[40:41], s[0:1], v[8:9]
	v_add_f64 v[30:31], v[12:13], -v[10:11]
	v_add_f64 v[10:11], v[10:11], v[12:13]
	v_add_f64 v[14:15], v[8:9], v[4:5]
	v_add_f64 v[4:5], v[4:5], -v[8:9]
	v_add_f64 v[8:9], v[240:241], v[192:193]
	ds_write2_b64 v170, v[14:15], v[30:31] offset0:14 offset1:21
	ds_write2_b64 v170, v[10:11], v[4:5] offset0:28 offset1:35
	v_add_f64 v[4:5], v[44:45], -v[50:51]
	v_add_f64 v[10:11], v[180:181], -v[8:9]
	;; [unrolled: 1-line block ×3, first 2 shown]
	v_mov_b32_e32 v44, v158
	ds_write_b64 v170, v[4:5] offset:336
	v_add_f64 v[4:5], v[212:213], v[180:181]
	v_mul_f64 v[234:235], v[10:11], s[2:3]
	v_add_f64 v[10:11], v[6:7], v[214:215]
	s_waitcnt lgkmcnt(0)
	s_barrier
	buffer_gl0_inv
	v_add_f64 v[4:5], v[8:9], v[4:5]
	v_add_f64 v[8:9], v[6:7], -v[214:215]
	v_add_f64 v[240:241], v[10:11], v[182:183]
	v_add_f64 v[0:1], v[0:1], v[4:5]
	v_mul_f64 v[238:239], v[8:9], s[8:9]
	v_fma_f64 v[242:243], v[4:5], s[4:5], v[0:1]
	v_fma_f64 v[4:5], v[202:203], s[14:15], v[234:235]
	v_add_f64 v[244:245], v[4:5], v[242:243]
	v_fma_f64 v[4:5], v[236:237], s[6:7], v[238:239]
	v_fma_f64 v[246:247], v[240:241], s[0:1], v[4:5]
	ds_read_b64 v[4:5], v155 offset:18816
	s_waitcnt lgkmcnt(0)
	buffer_store_dword v4, off, s[28:31], 0 offset:248 ; 4-byte Folded Spill
	buffer_store_dword v5, off, s[28:31], 0 offset:252 ; 4-byte Folded Spill
	ds_read2_b64 v[4:7], v155 offset1:49
	s_waitcnt lgkmcnt(0)
	buffer_store_dword v4, off, s[28:31], 0 offset:48 ; 4-byte Folded Spill
	buffer_store_dword v5, off, s[28:31], 0 offset:52 ; 4-byte Folded Spill
	;; [unrolled: 1-line block ×4, first 2 shown]
	ds_read2_b64 v[4:7], v26 offset0:38 offset1:87
	s_waitcnt lgkmcnt(0)
	buffer_store_dword v4, off, s[28:31], 0 offset:64 ; 4-byte Folded Spill
	buffer_store_dword v5, off, s[28:31], 0 offset:68 ; 4-byte Folded Spill
	buffer_store_dword v6, off, s[28:31], 0 offset:72 ; 4-byte Folded Spill
	buffer_store_dword v7, off, s[28:31], 0 offset:76 ; 4-byte Folded Spill
	ds_read2_b64 v[8:11], v233 offset0:174 offset1:223
	ds_read2_b64 v[4:7], v195 offset0:84 offset1:133
	v_add_nc_u32_e32 v233, 0x2800, v155
	s_waitcnt lgkmcnt(0)
	buffer_store_dword v4, off, s[28:31], 0 offset:144 ; 4-byte Folded Spill
	buffer_store_dword v5, off, s[28:31], 0 offset:148 ; 4-byte Folded Spill
	;; [unrolled: 1-line block ×4, first 2 shown]
	ds_read2_b64 v[12:15], v233 offset0:92 offset1:141
	ds_read2_b64 v[4:7], v137 offset0:130 offset1:179
	s_waitcnt lgkmcnt(0)
	buffer_store_dword v4, off, s[28:31], 0 offset:96 ; 4-byte Folded Spill
	buffer_store_dword v5, off, s[28:31], 0 offset:100 ; 4-byte Folded Spill
	;; [unrolled: 1-line block ×4, first 2 shown]
	ds_read2_b64 v[40:43], v191 offset0:10 offset1:59
	ds_read2_b64 v[4:7], v26 offset0:136 offset1:185
	v_add_nc_u32_e32 v26, 0x2000, v155
	s_waitcnt lgkmcnt(0)
	buffer_store_dword v4, off, s[28:31], 0 offset:80 ; 4-byte Folded Spill
	buffer_store_dword v5, off, s[28:31], 0 offset:84 ; 4-byte Folded Spill
	buffer_store_dword v6, off, s[28:31], 0 offset:88 ; 4-byte Folded Spill
	buffer_store_dword v7, off, s[28:31], 0 offset:92 ; 4-byte Folded Spill
	ds_read2_b64 v[4:7], v26 offset0:54 offset1:103
	s_waitcnt lgkmcnt(0)
	buffer_store_dword v4, off, s[28:31], 0 offset:176 ; 4-byte Folded Spill
	buffer_store_dword v5, off, s[28:31], 0 offset:180 ; 4-byte Folded Spill
	buffer_store_dword v6, off, s[28:31], 0 offset:184 ; 4-byte Folded Spill
	buffer_store_dword v7, off, s[28:31], 0 offset:188 ; 4-byte Folded Spill
	ds_read2_b64 v[4:7], v18 offset0:100 offset1:149
	;; [unrolled: 6-line block ×4, first 2 shown]
	ds_read2_b64 v[50:53], v233 offset0:190 offset1:239
	ds_read2_b64 v[188:191], v191 offset0:108 offset1:157
	;; [unrolled: 1-line block ×4, first 2 shown]
	v_add_nc_u32_e32 v18, 0x3800, v155
	s_waitcnt lgkmcnt(0)
	buffer_store_dword v30, off, s[28:31], 0 offset:264 ; 4-byte Folded Spill
	buffer_store_dword v31, off, s[28:31], 0 offset:268 ; 4-byte Folded Spill
	;; [unrolled: 1-line block ×4, first 2 shown]
	ds_read2_b64 v[33:36], v18 offset0:70 offset1:119
	s_waitcnt lgkmcnt(0)
	buffer_store_dword v33, off, s[28:31], 0 offset:232 ; 4-byte Folded Spill
	buffer_store_dword v34, off, s[28:31], 0 offset:236 ; 4-byte Folded Spill
	;; [unrolled: 1-line block ×4, first 2 shown]
	ds_read2_b64 v[36:39], v155 offset0:196 offset1:245
	s_waitcnt lgkmcnt(0)
	buffer_store_dword v36, off, s[28:31], 0 offset:16 ; 4-byte Folded Spill
	buffer_store_dword v37, off, s[28:31], 0 offset:20 ; 4-byte Folded Spill
	;; [unrolled: 1-line block ×4, first 2 shown]
	v_mov_b32_e32 v45, v26
	ds_read2_b64 v[33:36], v205 offset0:114 offset1:163
	ds_read2_b64 v[23:26], v137 offset0:32 offset1:81
	;; [unrolled: 1-line block ×3, first 2 shown]
	s_waitcnt lgkmcnt(0)
	buffer_store_dword v156, off, s[28:31], 0 offset:216 ; 4-byte Folded Spill
	buffer_store_dword v157, off, s[28:31], 0 offset:220 ; 4-byte Folded Spill
	buffer_store_dword v158, off, s[28:31], 0 offset:224 ; 4-byte Folded Spill
	buffer_store_dword v159, off, s[28:31], 0 offset:228 ; 4-byte Folded Spill
	ds_read2_b64 v[156:159], v130 offset0:76 offset1:125
	s_waitcnt lgkmcnt(0)
	buffer_store_dword v156, off, s[28:31], 0 offset:192 ; 4-byte Folded Spill
	buffer_store_dword v157, off, s[28:31], 0 offset:196 ; 4-byte Folded Spill
	buffer_store_dword v158, off, s[28:31], 0 offset:200 ; 4-byte Folded Spill
	buffer_store_dword v159, off, s[28:31], 0 offset:204 ; 4-byte Folded Spill
	ds_read2_b64 v[156:159], v136 offset0:122 offset1:171
	v_add_f64 v[136:137], v[244:245], -v[246:247]
	s_waitcnt lgkmcnt(0)
	buffer_store_dword v156, off, s[28:31], 0 offset:160 ; 4-byte Folded Spill
	buffer_store_dword v157, off, s[28:31], 0 offset:164 ; 4-byte Folded Spill
	;; [unrolled: 1-line block ×4, first 2 shown]
	ds_read2_b64 v[156:159], v18 offset0:168 offset1:217
	s_waitcnt lgkmcnt(0)
	buffer_store_dword v156, off, s[28:31], 0 offset:112 ; 4-byte Folded Spill
	buffer_store_dword v157, off, s[28:31], 0 offset:116 ; 4-byte Folded Spill
	;; [unrolled: 1-line block ×4, first 2 shown]
	s_waitcnt_vscnt null, 0x0
	s_barrier
	buffer_gl0_inv
	ds_write2_b64 v162, v[0:1], v[136:137] offset1:7
	v_add_f64 v[0:1], v[214:215], -v[182:183]
	v_add_f64 v[136:137], v[212:213], -v[180:181]
	v_mul_f64 v[180:181], v[202:203], s[14:15]
	v_add_f64 v[156:157], v[167:168], -v[160:161]
	v_add_f64 v[168:169], v[128:129], -v[122:123]
	buffer_store_dword v204, off, s[28:31], 0 offset:376 ; 4-byte Folded Spill
	v_fma_f64 v[182:183], v[0:1], s[16:17], -v[238:239]
	v_mul_f64 v[0:1], v[0:1], s[16:17]
	v_fma_f64 v[180:181], v[136:137], s[18:19], -v[180:181]
	v_fma_f64 v[136:137], v[136:137], s[22:23], -v[234:235]
	v_fma_f64 v[182:183], v[240:241], s[0:1], v[182:183]
	v_fma_f64 v[0:1], v[236:237], s[20:21], -v[0:1]
	v_add_f64 v[180:181], v[180:181], v[242:243]
	v_add_f64 v[136:137], v[136:137], v[242:243]
	v_fma_f64 v[0:1], v[240:241], s[0:1], v[0:1]
	v_add_f64 v[202:203], v[182:183], v[180:181]
	v_add_f64 v[180:181], v[180:181], -v[182:183]
	v_add_f64 v[212:213], v[136:137], -v[0:1]
	v_add_f64 v[0:1], v[0:1], v[136:137]
	v_add_f64 v[136:137], v[138:139], -v[184:185]
	v_add_f64 v[138:139], v[186:187], -v[210:211]
	ds_write2_b64 v162, v[212:213], v[202:203] offset0:14 offset1:21
	ds_write2_b64 v162, v[180:181], v[0:1] offset0:28 offset1:35
	v_add_f64 v[0:1], v[246:247], v[244:245]
	v_add_f64 v[180:181], v[156:157], -v[138:139]
	v_add_f64 v[182:183], v[156:157], v[138:139]
	v_add_f64 v[156:157], v[136:137], -v[156:157]
	ds_write_b64 v162, v[0:1] offset:336
	v_add_f64 v[0:1], v[126:127], v[114:115]
	v_mul_f64 v[180:181], v[180:181], s[8:9]
	v_add_f64 v[182:183], v[182:183], v[136:137]
	v_add_f64 v[114:115], v[140:141], -v[142:143]
	v_add_f64 v[126:127], v[174:175], -v[151:152]
	v_mov_b32_e32 v151, v131
	v_add_f64 v[160:161], v[122:123], v[0:1]
	v_fma_f64 v[210:211], v[156:157], s[6:7], v[180:181]
	v_add_f64 v[160:161], v[128:129], v[160:161]
	v_add_f64 v[128:129], v[0:1], -v[128:129]
	v_fma_f64 v[210:211], v[182:183], s[0:1], v[210:211]
	v_add_f64 v[0:1], v[122:123], -v[0:1]
	v_mul_f64 v[122:123], v[168:169], s[14:15]
	v_add_f64 v[2:3], v[2:3], v[160:161]
	v_mul_f64 v[128:129], v[128:129], s[2:3]
	v_fma_f64 v[122:123], v[0:1], s[18:19], -v[122:123]
	v_fma_f64 v[160:161], v[160:161], s[4:5], v[2:3]
	v_fma_f64 v[202:203], v[168:169], s[14:15], v[128:129]
	v_fma_f64 v[0:1], v[0:1], s[22:23], -v[128:129]
	v_add_f64 v[122:123], v[122:123], v[160:161]
	v_add_f64 v[202:203], v[202:203], v[160:161]
	;; [unrolled: 1-line block ×3, first 2 shown]
	v_add_f64 v[212:213], v[202:203], -v[210:211]
	ds_write2_b64 v248, v[2:3], v[212:213] offset1:7
	v_add_f64 v[2:3], v[138:139], -v[136:137]
	v_fma_f64 v[128:129], v[2:3], s[16:17], -v[180:181]
	v_mul_f64 v[2:3], v[2:3], s[16:17]
	v_fma_f64 v[128:129], v[182:183], s[0:1], v[128:129]
	v_fma_f64 v[2:3], v[156:157], s[20:21], -v[2:3]
	v_add_f64 v[136:137], v[128:129], v[122:123]
	v_fma_f64 v[2:3], v[182:183], s[0:1], v[2:3]
	v_add_f64 v[122:123], v[122:123], -v[128:129]
	v_add_f64 v[128:129], v[144:145], -v[149:150]
	;; [unrolled: 1-line block ×3, first 2 shown]
	v_add_f64 v[0:1], v[2:3], v[0:1]
	v_add_f64 v[2:3], v[172:173], v[108:109]
	v_add_f64 v[142:143], v[128:129], -v[114:115]
	v_add_f64 v[156:157], v[128:129], v[114:115]
	v_add_f64 v[128:129], v[126:127], -v[128:129]
	v_add_f64 v[108:109], v[132:133], -v[120:121]
	ds_write2_b64 v248, v[138:139], v[136:137] offset0:14 offset1:21
	ds_write2_b64 v248, v[122:123], v[0:1] offset0:28 offset1:35
	v_add_f64 v[0:1], v[210:211], v[202:203]
	v_add_f64 v[122:123], v[206:207], v[110:111]
	v_mul_f64 v[142:143], v[142:143], s[8:9]
	v_add_f64 v[156:157], v[156:157], v[126:127]
	ds_write_b64 v248, v[0:1] offset:336
	v_add_f64 v[0:1], v[112:113], v[118:119]
	v_fma_f64 v[160:161], v[128:129], s[6:7], v[142:143]
	v_add_f64 v[118:119], v[229:230], -v[134:135]
	v_mov_b32_e32 v112, v233
	v_mov_b32_e32 v150, v112
	v_add_f64 v[136:137], v[2:3], v[0:1]
	v_add_f64 v[138:139], v[0:1], -v[122:123]
	v_fma_f64 v[160:161], v[156:157], s[0:1], v[160:161]
	v_add_f64 v[0:1], v[2:3], -v[0:1]
	v_add_f64 v[136:137], v[122:123], v[136:137]
	v_add_f64 v[122:123], v[122:123], -v[2:3]
	v_mul_f64 v[138:139], v[138:139], s[2:3]
	v_add_f64 v[102:103], v[102:103], v[136:137]
	v_mul_f64 v[2:3], v[122:123], s[14:15]
	v_fma_f64 v[158:159], v[122:123], s[14:15], v[138:139]
	v_fma_f64 v[136:137], v[136:137], s[4:5], v[102:103]
	v_fma_f64 v[2:3], v[0:1], s[18:19], -v[2:3]
	v_fma_f64 v[0:1], v[0:1], s[22:23], -v[138:139]
	v_add_f64 v[158:159], v[158:159], v[136:137]
	v_add_f64 v[2:3], v[2:3], v[136:137]
	;; [unrolled: 1-line block ×4, first 2 shown]
	v_add_f64 v[168:169], v[158:159], -v[160:161]
	ds_write2_b64 v249, v[102:103], v[168:169] offset1:7
	v_add_f64 v[102:103], v[114:115], -v[126:127]
	v_fma_f64 v[114:115], v[102:103], s[16:17], -v[142:143]
	v_mul_f64 v[102:103], v[102:103], s[16:17]
	v_fma_f64 v[114:115], v[156:157], s[0:1], v[114:115]
	v_fma_f64 v[102:103], v[128:129], s[20:21], -v[102:103]
	v_add_f64 v[128:129], v[118:119], -v[108:109]
	v_add_f64 v[122:123], v[114:115], v[2:3]
	v_fma_f64 v[102:103], v[156:157], s[0:1], v[102:103]
	v_add_f64 v[2:3], v[2:3], -v[114:115]
	v_add_f64 v[114:115], v[92:93], v[94:95]
	v_mul_f64 v[128:129], v[128:129], s[8:9]
	v_add_f64 v[126:127], v[0:1], -v[102:103]
	v_add_f64 v[0:1], v[102:103], v[0:1]
	v_add_f64 v[102:103], v[116:117], -v[124:125]
	ds_write2_b64 v249, v[126:127], v[122:123] offset0:14 offset1:21
	ds_write2_b64 v249, v[2:3], v[0:1] offset0:28 offset1:35
	v_add_f64 v[0:1], v[160:161], v[158:159]
	v_add_f64 v[2:3], v[88:89], v[224:225]
	v_add_f64 v[118:119], v[102:103], -v[118:119]
	v_add_f64 v[136:137], v[136:137], v[102:103]
	v_add_f64 v[102:103], v[108:109], -v[102:103]
	ds_write_b64 v249, v[0:1] offset:336
	v_add_f64 v[0:1], v[74:75], v[76:77]
	v_fma_f64 v[140:141], v[118:119], s[6:7], v[128:129]
	v_add_f64 v[122:123], v[2:3], v[0:1]
	v_add_f64 v[126:127], v[0:1], -v[114:115]
	v_fma_f64 v[140:141], v[136:137], s[0:1], v[140:141]
	v_add_f64 v[0:1], v[2:3], -v[0:1]
	v_add_f64 v[122:123], v[114:115], v[122:123]
	v_add_f64 v[114:115], v[114:115], -v[2:3]
	v_mul_f64 v[126:127], v[126:127], s[2:3]
	v_add_f64 v[104:105], v[104:105], v[122:123]
	v_mul_f64 v[2:3], v[114:115], s[14:15]
	v_fma_f64 v[138:139], v[114:115], s[14:15], v[126:127]
	v_fma_f64 v[122:123], v[122:123], s[4:5], v[104:105]
	v_add_f64 v[138:139], v[138:139], v[122:123]
	v_add_f64 v[142:143], v[138:139], -v[140:141]
	ds_write2_b64 v196, v[104:105], v[142:143] offset1:7
	v_fma_f64 v[104:105], v[0:1], s[22:23], -v[126:127]
	v_fma_f64 v[0:1], v[0:1], s[18:19], -v[2:3]
	v_mul_f64 v[2:3], v[102:103], s[16:17]
	v_fma_f64 v[102:103], v[102:103], s[16:17], -v[128:129]
	v_add_f64 v[104:105], v[104:105], v[122:123]
	v_add_f64 v[0:1], v[0:1], v[122:123]
	v_fma_f64 v[2:3], v[118:119], s[20:21], -v[2:3]
	v_fma_f64 v[102:103], v[136:137], s[0:1], v[102:103]
	v_fma_f64 v[2:3], v[136:137], s[0:1], v[2:3]
	v_add_f64 v[114:115], v[102:103], v[0:1]
	v_add_f64 v[0:1], v[0:1], -v[102:103]
	v_add_f64 v[102:103], v[82:83], -v[84:85]
	;; [unrolled: 1-line block ×3, first 2 shown]
	v_add_f64 v[2:3], v[2:3], v[104:105]
	v_add_f64 v[104:105], v[70:71], v[64:65]
	ds_write2_b64 v196, v[108:109], v[114:115] offset0:14 offset1:21
	ds_write2_b64 v196, v[0:1], v[2:3] offset0:28 offset1:35
	v_add_f64 v[0:1], v[140:141], v[138:139]
	v_add_f64 v[2:3], v[66:67], v[250:251]
	v_add_f64 v[108:109], v[86:87], -v[90:91]
	v_add_f64 v[114:115], v[106:107], -v[220:221]
	ds_write_b64 v196, v[0:1] offset:336
	v_add_f64 v[0:1], v[163:164], v[28:29]
	v_add_f64 v[126:127], v[108:109], -v[102:103]
	v_add_f64 v[124:125], v[108:109], v[102:103]
	v_add_f64 v[108:109], v[114:115], -v[108:109]
	;; [unrolled: 2-line block ×3, first 2 shown]
	v_mul_f64 v[126:127], v[126:127], s[8:9]
	v_add_f64 v[124:125], v[124:125], v[114:115]
	v_add_f64 v[0:1], v[2:3], -v[0:1]
	v_add_f64 v[118:119], v[104:105], v[118:119]
	v_add_f64 v[104:105], v[104:105], -v[2:3]
	v_mul_f64 v[122:123], v[122:123], s[2:3]
	v_fma_f64 v[132:133], v[108:109], s[6:7], v[126:127]
	v_add_f64 v[2:3], v[102:103], -v[114:115]
	v_add_f64 v[98:99], v[98:99], v[118:119]
	v_fma_f64 v[128:129], v[104:105], s[14:15], v[122:123]
	v_fma_f64 v[132:133], v[124:125], s[0:1], v[132:133]
	v_fma_f64 v[102:103], v[2:3], s[16:17], -v[126:127]
	v_mul_f64 v[2:3], v[2:3], s[16:17]
	v_fma_f64 v[118:119], v[118:119], s[4:5], v[98:99]
	v_fma_f64 v[102:103], v[124:125], s[0:1], v[102:103]
	v_fma_f64 v[2:3], v[108:109], s[20:21], -v[2:3]
	v_add_f64 v[128:129], v[128:129], v[118:119]
	v_fma_f64 v[2:3], v[124:125], s[0:1], v[2:3]
	v_add_f64 v[136:137], v[128:129], -v[132:133]
	ds_write2_b64 v197, v[98:99], v[136:137] offset1:7
	v_mul_f64 v[98:99], v[104:105], s[14:15]
	v_fma_f64 v[98:99], v[0:1], s[18:19], -v[98:99]
	v_fma_f64 v[0:1], v[0:1], s[22:23], -v[122:123]
	v_add_f64 v[98:99], v[98:99], v[118:119]
	v_add_f64 v[0:1], v[0:1], v[118:119]
	;; [unrolled: 1-line block ×3, first 2 shown]
	v_add_f64 v[108:109], v[0:1], -v[2:3]
	v_add_f64 v[98:99], v[98:99], -v[102:103]
	v_add_f64 v[0:1], v[2:3], v[0:1]
	v_add_f64 v[2:3], v[80:81], v[176:177]
	v_add_f64 v[102:103], v[60:61], -v[46:47]
	ds_write2_b64 v197, v[108:109], v[104:105] offset0:14 offset1:21
	v_add_f64 v[104:105], v[54:55], v[19:20]
	ds_write2_b64 v197, v[98:99], v[0:1] offset0:28 offset1:35
	v_add_f64 v[0:1], v[132:133], v[128:129]
	v_add_f64 v[98:99], v[96:97], -v[231:232]
	v_add_f64 v[108:109], v[72:73], -v[78:79]
	;; [unrolled: 1-line block ×3, first 2 shown]
	ds_write_b64 v197, v[0:1] offset:336
	v_add_f64 v[0:1], v[208:209], v[227:228]
	v_add_f64 v[120:121], v[102:103], -v[98:99]
	v_add_f64 v[118:119], v[102:103], v[98:99]
	v_add_f64 v[102:103], v[108:109], -v[102:103]
	v_mul_f64 v[116:117], v[116:117], s[2:3]
	v_add_f64 v[114:115], v[0:1], v[2:3]
	v_mul_f64 v[120:121], v[120:121], s[8:9]
	v_add_f64 v[118:119], v[118:119], v[108:109]
	v_add_f64 v[114:115], v[104:105], v[114:115]
	v_add_f64 v[104:105], v[104:105], -v[0:1]
	v_fma_f64 v[124:125], v[102:103], s[6:7], v[120:121]
	v_add_f64 v[0:1], v[0:1], -v[2:3]
	v_add_f64 v[2:3], v[98:99], -v[108:109]
	v_add_f64 v[100:101], v[100:101], v[114:115]
	v_fma_f64 v[122:123], v[104:105], s[14:15], v[116:117]
	v_fma_f64 v[124:125], v[118:119], s[0:1], v[124:125]
	v_mul_f64 v[98:99], v[104:105], s[14:15]
	v_fma_f64 v[114:115], v[114:115], s[4:5], v[100:101]
	v_fma_f64 v[98:99], v[0:1], s[18:19], -v[98:99]
	v_fma_f64 v[0:1], v[0:1], s[22:23], -v[116:117]
	v_add_f64 v[122:123], v[122:123], v[114:115]
	v_add_f64 v[98:99], v[98:99], v[114:115]
	;; [unrolled: 1-line block ×3, first 2 shown]
	v_add_f64 v[126:127], v[122:123], -v[124:125]
	ds_write2_b64 v153, v[100:101], v[126:127] offset1:7
	v_mul_f64 v[100:101], v[2:3], s[16:17]
	v_fma_f64 v[2:3], v[2:3], s[16:17], -v[120:121]
	v_fma_f64 v[100:101], v[102:103], s[20:21], -v[100:101]
	v_fma_f64 v[2:3], v[118:119], s[0:1], v[2:3]
	v_fma_f64 v[100:101], v[118:119], s[0:1], v[100:101]
	v_add_f64 v[104:105], v[2:3], v[98:99]
	v_add_f64 v[2:3], v[98:99], -v[2:3]
	v_add_f64 v[98:99], v[62:63], -v[222:223]
	;; [unrolled: 1-line block ×3, first 2 shown]
	v_add_f64 v[0:1], v[100:101], v[0:1]
	v_add_f64 v[100:101], v[21:22], -v[252:253]
	ds_write2_b64 v153, v[102:103], v[104:105] offset0:14 offset1:21
	ds_write2_b64 v153, v[2:3], v[0:1] offset0:28 offset1:35
	v_add_f64 v[0:1], v[124:125], v[122:123]
	v_add_f64 v[2:3], v[58:59], v[68:69]
	;; [unrolled: 1-line block ×3, first 2 shown]
	v_add_f64 v[104:105], v[56:57], -v[48:49]
	v_add_f64 v[118:119], v[100:101], -v[98:99]
	v_add_f64 v[116:117], v[100:101], v[98:99]
	ds_write_b64 v153, v[0:1] offset:336
	v_add_f64 v[0:1], v[216:217], v[16:17]
	v_add_f64 v[100:101], v[104:105], -v[100:101]
	v_mul_f64 v[118:119], v[118:119], s[8:9]
	v_add_f64 v[116:117], v[116:117], v[104:105]
	v_add_f64 v[108:109], v[2:3], v[0:1]
	v_add_f64 v[114:115], v[0:1], -v[102:103]
	v_add_f64 v[0:1], v[2:3], -v[0:1]
	v_fma_f64 v[122:123], v[100:101], s[6:7], v[118:119]
	v_add_f64 v[108:109], v[102:103], v[108:109]
	v_add_f64 v[102:103], v[102:103], -v[2:3]
	v_mul_f64 v[114:115], v[114:115], s[2:3]
	v_fma_f64 v[122:123], v[116:117], s[0:1], v[122:123]
	v_add_f64 v[2:3], v[98:99], -v[104:105]
	v_add_f64 v[84:85], v[218:219], v[108:109]
	v_fma_f64 v[120:121], v[102:103], s[14:15], v[114:115]
	v_mul_f64 v[98:99], v[2:3], s[16:17]
	v_fma_f64 v[2:3], v[2:3], s[16:17], -v[118:119]
	v_fma_f64 v[108:109], v[108:109], s[4:5], v[84:85]
	v_fma_f64 v[98:99], v[100:101], s[20:21], -v[98:99]
	v_fma_f64 v[2:3], v[116:117], s[0:1], v[2:3]
	v_add_f64 v[120:121], v[120:121], v[108:109]
	v_fma_f64 v[98:99], v[116:117], s[0:1], v[98:99]
	v_add_f64 v[124:125], v[120:121], -v[122:123]
	ds_write2_b64 v170, v[84:85], v[124:125] offset1:7
	v_mul_f64 v[84:85], v[102:103], s[14:15]
	v_fma_f64 v[84:85], v[0:1], s[18:19], -v[84:85]
	v_fma_f64 v[0:1], v[0:1], s[22:23], -v[114:115]
	v_add_f64 v[84:85], v[84:85], v[108:109]
	v_add_f64 v[0:1], v[0:1], v[108:109]
	;; [unrolled: 1-line block ×3, first 2 shown]
	v_add_f64 v[100:101], v[0:1], -v[98:99]
	v_add_f64 v[2:3], v[84:85], -v[2:3]
	v_add_f64 v[0:1], v[98:99], v[0:1]
	ds_write2_b64 v170, v[100:101], v[102:103] offset0:14 offset1:21
	ds_write2_b64 v170, v[2:3], v[0:1] offset0:28 offset1:35
	v_add_f64 v[0:1], v[122:123], v[120:121]
	ds_write_b64 v170, v[0:1] offset:336
	v_mul_u32_u24_e32 v0, 6, v204
	s_waitcnt lgkmcnt(0)
	s_waitcnt_vscnt null, 0x0
	s_barrier
	buffer_gl0_inv
	ds_read2_b64 v[102:105], v130 offset0:174 offset1:223
	v_lshlrev_b32_e32 v108, 4, v0
	s_clause 0x1
	global_load_dwordx4 v[98:101], v108, s[12:13] offset:688
	global_load_dwordx4 v[0:3], v108, s[12:13] offset:672
	buffer_store_dword v108, off, s[28:31], 0 offset:384 ; 4-byte Folded Spill
	global_load_dwordx4 v[220:223], v108, s[12:13] offset:704
	s_waitcnt vmcnt(2) lgkmcnt(0)
	v_mul_f64 v[84:85], v[102:103], v[100:101]
	v_mul_f64 v[94:95], v[10:11], v[100:101]
	v_fma_f64 v[178:179], v[8:9], v[98:99], -v[84:85]
	v_mul_f64 v[84:85], v[104:105], v[100:101]
	v_fma_f64 v[202:203], v[104:105], v[98:99], v[94:95]
	v_fma_f64 v[214:215], v[10:11], v[98:99], -v[84:85]
	v_mul_f64 v[84:85], v[8:9], v[100:101]
	v_add_nc_u32_e32 v11, 0x3000, v155
	v_mov_b32_e32 v10, v45
	v_fma_f64 v[180:181], v[102:103], v[98:99], v[84:85]
	global_load_dwordx4 v[98:101], v108, s[12:13] offset:720
	ds_read2_b64 v[102:105], v233 offset0:92 offset1:141
	global_load_dwordx4 v[230:233], v108, s[12:13] offset:736
	s_waitcnt vmcnt(1) lgkmcnt(0)
	v_mul_f64 v[84:85], v[102:103], v[100:101]
	v_mul_f64 v[94:95], v[104:105], v[100:101]
	;; [unrolled: 1-line block ×4, first 2 shown]
	v_fma_f64 v[166:167], v[12:13], v[98:99], -v[84:85]
	v_fma_f64 v[138:139], v[14:15], v[98:99], -v[94:95]
	v_fma_f64 v[106:107], v[102:103], v[98:99], v[90:91]
	v_fma_f64 v[210:211], v[104:105], v[98:99], v[92:93]
	global_load_dwordx4 v[98:101], v108, s[12:13] offset:752
	ds_read2_b64 v[102:105], v154 offset0:10 offset1:59
	s_waitcnt vmcnt(0)
	v_mul_f64 v[88:89], v[42:43], v[100:101]
	s_waitcnt lgkmcnt(0)
	v_mul_f64 v[92:93], v[102:103], v[100:101]
	v_mul_f64 v[94:95], v[104:105], v[100:101]
	;; [unrolled: 1-line block ×3, first 2 shown]
	v_fma_f64 v[116:117], v[104:105], v[98:99], v[88:89]
	v_and_b32_e32 v88, 0xff, v226
	v_fma_f64 v[114:115], v[40:41], v[98:99], -v[92:93]
	v_fma_f64 v[140:141], v[42:43], v[98:99], -v[94:95]
	v_fma_f64 v[163:164], v[102:103], v[98:99], v[86:87]
	ds_read2_b64 v[102:105], v205 offset0:16 offset1:65
	v_mul_lo_u16 v88, 0x4f, v88
	v_lshrrev_b16 v88, 8, v88
	v_sub_nc_u16 v89, v226, v88
	v_lshrrev_b16 v89, 1, v89
	v_and_b32_e32 v89, 0x7f, v89
	v_add_nc_u16 v88, v89, v88
	v_lshrrev_b16 v88, 5, v88
	v_mul_lo_u16 v88, v88, 49
	v_sub_nc_u16 v88, v226, v88
	v_and_b32_e32 v129, 0xff, v88
	v_mul_u32_u24_e32 v89, 6, v129
	v_lshl_add_u32 v165, v129, 3, 0
	v_lshlrev_b32_e32 v89, 4, v89
	v_add_nc_u32_e32 v162, 0x1800, v165
	s_clause 0x1
	global_load_dwordx4 v[98:101], v89, s[12:13] offset:688
	global_load_dwordx4 v[94:97], v89, s[12:13] offset:672
	s_waitcnt vmcnt(1)
	v_mul_f64 v[80:81], v[4:5], v[100:101]
	s_waitcnt lgkmcnt(0)
	v_mul_f64 v[108:109], v[102:103], v[100:101]
	v_fma_f64 v[236:237], v[102:103], v[98:99], v[80:81]
	v_and_b32_e32 v80, 0xff, v171
	v_fma_f64 v[212:213], v[4:5], v[98:99], -v[108:109]
	v_mul_lo_u16 v80, 0x4f, v80
	v_lshrrev_b16 v80, 8, v80
	v_sub_nc_u16 v81, v171, v80
	v_lshrrev_b16 v81, 1, v81
	v_and_b32_e32 v81, 0x7f, v81
	v_add_nc_u16 v80, v81, v80
	v_lshrrev_b16 v80, 5, v80
	v_mul_lo_u16 v80, v80, 49
	v_sub_nc_u16 v80, v171, v80
	v_and_b32_e32 v80, 0xff, v80
	v_mul_u32_u24_e32 v81, 6, v80
	v_lshlrev_b32_e32 v108, 4, v81
	s_clause 0x2
	global_load_dwordx4 v[98:101], v108, s[12:13] offset:688
	global_load_dwordx4 v[120:123], v108, s[12:13] offset:672
	;; [unrolled: 1-line block ×3, first 2 shown]
	s_waitcnt vmcnt(2)
	v_mul_f64 v[102:103], v[104:105], v[100:101]
	v_mul_f64 v[81:82], v[6:7], v[100:101]
	s_waitcnt vmcnt(1)
	v_mul_f64 v[68:69], v[192:193], v[122:123]
	v_fma_f64 v[186:187], v[6:7], v[98:99], -v[102:103]
	v_fma_f64 v[152:153], v[104:105], v[98:99], v[81:82]
	global_load_dwordx4 v[98:101], v89, s[12:13] offset:720
	ds_read2_b64 v[102:105], v112 offset0:190 offset1:239
	s_waitcnt vmcnt(0) lgkmcnt(0)
	v_mul_f64 v[81:82], v[102:103], v[100:101]
	v_mul_f64 v[76:77], v[50:51], v[100:101]
	v_fma_f64 v[216:217], v[50:51], v[98:99], -v[81:82]
	v_fma_f64 v[182:183], v[102:103], v[98:99], v[76:77]
	s_clause 0x1
	global_load_dwordx4 v[98:101], v108, s[12:13] offset:720
	global_load_dwordx4 v[124:127], v108, s[12:13] offset:704
	s_waitcnt vmcnt(1)
	v_mul_f64 v[76:77], v[104:105], v[100:101]
	v_fma_f64 v[4:5], v[52:53], v[98:99], -v[76:77]
	v_mul_f64 v[76:77], v[52:53], v[100:101]
	buffer_store_dword v4, off, s[28:31], 0 offset:344 ; 4-byte Folded Spill
	buffer_store_dword v5, off, s[28:31], 0 offset:348 ; 4-byte Folded Spill
	v_fma_f64 v[4:5], v[104:105], v[98:99], v[76:77]
	buffer_store_dword v4, off, s[28:31], 0 offset:320 ; 4-byte Folded Spill
	buffer_store_dword v5, off, s[28:31], 0 offset:324 ; 4-byte Folded Spill
	s_clause 0x1
	global_load_dwordx4 v[76:79], v89, s[12:13] offset:752
	global_load_dwordx4 v[98:101], v89, s[12:13] offset:736
	ds_read2_b64 v[102:105], v154 offset0:108 offset1:157
	v_mov_b32_e32 v88, v152
	v_mov_b32_e32 v89, v153
	s_waitcnt vmcnt(1) lgkmcnt(0)
	v_mul_f64 v[81:82], v[102:103], v[78:79]
	v_mul_f64 v[72:73], v[188:189], v[78:79]
	v_fma_f64 v[132:133], v[188:189], v[76:77], -v[81:82]
	v_fma_f64 v[86:87], v[102:103], v[76:77], v[72:73]
	s_clause 0x1
	global_load_dwordx4 v[76:79], v108, s[12:13] offset:752
	global_load_dwordx4 v[134:137], v108, s[12:13] offset:736
	v_mov_b32_e32 v82, v44
	v_mov_b32_e32 v189, v183
	;; [unrolled: 1-line block ×3, first 2 shown]
	v_lshl_add_u32 v183, v80, 3, 0
	v_add_nc_u32_e32 v182, 0x2000, v183
	s_waitcnt vmcnt(1)
	v_mul_f64 v[72:73], v[104:105], v[78:79]
	v_fma_f64 v[238:239], v[190:191], v[76:77], -v[72:73]
	v_mul_f64 v[72:73], v[190:191], v[78:79]
	v_mov_b32_e32 v190, v210
	v_mov_b32_e32 v191, v211
	;; [unrolled: 1-line block ×5, first 2 shown]
	v_fma_f64 v[6:7], v[104:105], v[76:77], v[72:73]
	buffer_store_dword v6, off, s[28:31], 0 offset:368 ; 4-byte Folded Spill
	buffer_store_dword v7, off, s[28:31], 0 offset:372 ; 4-byte Folded Spill
	ds_read2_b64 v[72:75], v44 offset0:106 offset1:155
	v_mov_b32_e32 v213, v239
	s_waitcnt lgkmcnt(0)
	v_mul_f64 v[76:77], v[72:73], v[122:123]
	v_fma_f64 v[224:225], v[192:193], v[120:121], -v[76:77]
	v_fma_f64 v[120:121], v[72:73], v[120:121], v[68:69]
	v_and_b32_e32 v68, 0xff, v146
	v_mul_lo_u16 v68, 0x4f, v68
	v_lshrrev_b16 v68, 8, v68
	v_sub_nc_u16 v69, v146, v68
	v_lshrrev_b16 v69, 1, v69
	v_and_b32_e32 v69, 0x7f, v69
	v_add_nc_u16 v68, v69, v68
	v_lshrrev_b16 v68, 5, v68
	v_mul_lo_u16 v68, v68, 49
	v_sub_nc_u16 v68, v146, v68
	v_and_b32_e32 v68, 0xff, v68
	v_mul_u32_u24_e32 v69, 6, v68
	v_lshl_add_u32 v234, v68, 3, 0
	v_lshlrev_b32_e32 v81, 4, v69
	s_clause 0x1
	global_load_dwordx4 v[76:79], v81, s[12:13] offset:672
	global_load_dwordx4 v[102:105], v81, s[12:13] offset:688
	v_add_nc_u32_e32 v235, 0x2800, v234
	s_waitcnt vmcnt(1)
	v_mul_f64 v[72:73], v[74:75], v[78:79]
	v_mul_f64 v[69:70], v[194:195], v[78:79]
	s_waitcnt vmcnt(0)
	v_mul_f64 v[56:57], v[33:34], v[104:105]
	v_add_nc_u32_e32 v79, 0x3400, v155
	v_fma_f64 v[6:7], v[194:195], v[76:77], -v[72:73]
	buffer_store_dword v6, off, s[28:31], 0 offset:304 ; 4-byte Folded Spill
	buffer_store_dword v7, off, s[28:31], 0 offset:308 ; 4-byte Folded Spill
	v_fma_f64 v[6:7], v[74:75], v[76:77], v[69:70]
	buffer_store_dword v6, off, s[28:31], 0 offset:280 ; 4-byte Folded Spill
	buffer_store_dword v7, off, s[28:31], 0 offset:284 ; 4-byte Folded Spill
	ds_read2_b64 v[69:72], v45 offset0:152 offset1:201
	s_clause 0x3
	buffer_load_dword v6, off, s[28:31], 0 offset:264
	buffer_load_dword v7, off, s[28:31], 0 offset:268
	;; [unrolled: 1-line block ×4, first 2 shown]
	v_mov_b32_e32 v77, 0x4e5f
	s_waitcnt lgkmcnt(0)
	v_mul_f64 v[73:74], v[69:70], v[126:127]
	s_waitcnt vmcnt(2)
	v_fma_f64 v[172:173], v[6:7], v[124:125], -v[73:74]
	s_clause 0x1
	global_load_dwordx4 v[73:76], v81, s[12:13] offset:704
	global_load_dwordx4 v[146:149], v81, s[12:13] offset:720
	v_mul_f64 v[64:65], v[6:7], v[126:127]
	v_fma_f64 v[84:85], v[69:70], v[124:125], v[64:65]
	s_waitcnt vmcnt(1)
	v_mul_f64 v[64:65], v[71:72], v[75:76]
	s_waitcnt vmcnt(0)
	v_mul_f64 v[52:53], v[23:24], v[148:149]
	v_fma_f64 v[6:7], v[8:9], v[73:74], -v[64:65]
	v_mul_f64 v[64:65], v[8:9], v[75:76]
	buffer_store_dword v6, off, s[28:31], 0 offset:352 ; 4-byte Folded Spill
	buffer_store_dword v7, off, s[28:31], 0 offset:356 ; 4-byte Folded Spill
	v_fma_f64 v[6:7], v[71:72], v[73:74], v[64:65]
	buffer_store_dword v6, off, s[28:31], 0 offset:328 ; 4-byte Folded Spill
	buffer_store_dword v7, off, s[28:31], 0 offset:332 ; 4-byte Folded Spill
	ds_read2_b64 v[64:67], v18 offset0:70 offset1:119
	s_clause 0x3
	buffer_load_dword v6, off, s[28:31], 0 offset:232
	buffer_load_dword v7, off, s[28:31], 0 offset:236
	;; [unrolled: 1-line block ×4, first 2 shown]
	s_waitcnt lgkmcnt(0)
	v_mul_f64 v[69:70], v[64:65], v[136:137]
	s_waitcnt vmcnt(2)
	v_fma_f64 v[118:119], v[6:7], v[134:135], -v[69:70]
	s_clause 0x1
	global_load_dwordx4 v[69:72], v81, s[12:13] offset:736
	global_load_dwordx4 v[73:76], v81, s[12:13] offset:752
	v_mul_f64 v[60:61], v[6:7], v[136:137]
	buffer_load_dword v6, off, s[28:31], 0 offset:208 ; 4-byte Folded Reload
	v_add_nc_u32_e32 v81, 0x1c00, v155
	v_add_nc_u32_e32 v136, 0x2400, v155
	v_mov_b32_e32 v137, v130
	v_fma_f64 v[92:93], v[64:65], v[134:135], v[60:61]
	s_waitcnt vmcnt(2)
	v_mul_f64 v[60:61], v[66:67], v[71:72]
	v_fma_f64 v[90:91], v[8:9], v[69:70], -v[60:61]
	v_mul_f64 v[60:61], v[8:9], v[71:72]
	v_fma_f64 v[124:125], v[66:67], v[69:70], v[60:61]
	ds_read2_b64 v[60:63], v205 offset0:114 offset1:163
	s_waitcnt lgkmcnt(0)
	v_fma_f64 v[240:241], v[60:61], v[102:103], v[56:57]
	s_waitcnt vmcnt(0)
	v_mul_u32_u24_sdwa v56, v6, v77 dst_sel:DWORD dst_unused:UNUSED_PAD src0_sel:WORD_0 src1_sel:DWORD
	v_mul_f64 v[64:65], v[60:61], v[104:105]
	v_mov_b32_e32 v239, v125
	v_mov_b32_e32 v238, v124
	v_lshrrev_b32_e32 v56, 16, v56
	v_sub_nc_u16 v57, v6, v56
	v_lshrrev_b16 v57, 1, v57
	v_add_nc_u16 v56, v57, v56
	v_mov_b32_e32 v152, v240
	v_mov_b32_e32 v153, v241
	v_fma_f64 v[242:243], v[33:34], v[102:103], -v[64:65]
	v_lshrrev_b16 v56, 5, v56
	v_mul_lo_u16 v56, v56, 49
	v_sub_nc_u16 v56, v6, v56
	v_and_b32_e32 v56, 0xffff, v56
	v_mul_u32_u24_e32 v57, 6, v56
	v_lshlrev_b32_e32 v78, 4, v57
	s_clause 0x1
	global_load_dwordx4 v[64:67], v78, s[12:13] offset:688
	global_load_dwordx4 v[69:72], v78, s[12:13] offset:672
	s_waitcnt vmcnt(1)
	v_mul_f64 v[60:61], v[62:63], v[66:67]
	v_mul_f64 v[57:58], v[35:36], v[66:67]
	v_fma_f64 v[6:7], v[35:36], v[64:65], -v[60:61]
	buffer_store_dword v6, off, s[28:31], 0 offset:232 ; 4-byte Folded Spill
	buffer_store_dword v7, off, s[28:31], 0 offset:236 ; 4-byte Folded Spill
	v_fma_f64 v[6:7], v[62:63], v[64:65], v[57:58]
	buffer_store_dword v6, off, s[28:31], 0 offset:208 ; 4-byte Folded Spill
	buffer_store_dword v7, off, s[28:31], 0 offset:212 ; 4-byte Folded Spill
	ds_read2_b64 v[57:60], v11 offset0:32 offset1:81
	s_waitcnt lgkmcnt(0)
	v_mul_f64 v[61:62], v[57:58], v[148:149]
	v_fma_f64 v[208:209], v[57:58], v[146:147], v[52:53]
	v_fma_f64 v[206:207], v[23:24], v[146:147], -v[61:62]
	s_clause 0x1
	global_load_dwordx4 v[61:64], v78, s[12:13] offset:720
	global_load_dwordx4 v[102:105], v78, s[12:13] offset:704
	v_mov_b32_e32 v124, v208
	v_mov_b32_e32 v125, v209
	s_waitcnt vmcnt(1)
	v_mul_f64 v[52:53], v[59:60], v[63:64]
	v_fma_f64 v[6:7], v[25:26], v[61:62], -v[52:53]
	v_mul_f64 v[52:53], v[25:26], v[63:64]
	buffer_store_dword v6, off, s[28:31], 0 offset:288 ; 4-byte Folded Spill
	buffer_store_dword v7, off, s[28:31], 0 offset:292 ; 4-byte Folded Spill
	v_fma_f64 v[6:7], v[59:60], v[61:62], v[52:53]
	buffer_store_dword v6, off, s[28:31], 0 offset:264 ; 4-byte Folded Spill
	buffer_store_dword v7, off, s[28:31], 0 offset:268 ; 4-byte Folded Spill
	ds_read2_b64 v[52:55], v154 offset0:206 offset1:255
	s_clause 0x3
	buffer_load_dword v6, off, s[28:31], 0 offset:216
	buffer_load_dword v7, off, s[28:31], 0 offset:220
	;; [unrolled: 1-line block ×4, first 2 shown]
	s_waitcnt lgkmcnt(0)
	v_mul_f64 v[57:58], v[52:53], v[75:76]
	s_waitcnt vmcnt(2)
	v_fma_f64 v[176:177], v[6:7], v[73:74], -v[57:58]
	s_clause 0x1
	global_load_dwordx4 v[57:60], v78, s[12:13] offset:752
	global_load_dwordx4 v[61:64], v78, s[12:13] offset:736
	v_mul_f64 v[48:49], v[6:7], v[75:76]
	v_fma_f64 v[218:219], v[52:53], v[73:74], v[48:49]
	s_waitcnt vmcnt(1)
	v_mul_f64 v[48:49], v[54:55], v[59:60]
	v_fma_f64 v[6:7], v[8:9], v[57:58], -v[48:49]
	v_mul_f64 v[48:49], v[8:9], v[59:60]
	buffer_store_dword v6, off, s[28:31], 0 offset:336 ; 4-byte Folded Spill
	buffer_store_dword v7, off, s[28:31], 0 offset:340 ; 4-byte Folded Spill
	v_fma_f64 v[6:7], v[54:55], v[57:58], v[48:49]
	buffer_store_dword v6, off, s[28:31], 0 offset:296 ; 4-byte Folded Spill
	buffer_store_dword v7, off, s[28:31], 0 offset:300 ; 4-byte Folded Spill
	ds_read2_b64 v[48:51], v130 offset0:76 offset1:125
	s_clause 0x3
	buffer_load_dword v6, off, s[28:31], 0 offset:192
	buffer_load_dword v7, off, s[28:31], 0 offset:196
	;; [unrolled: 1-line block ×4, first 2 shown]
	s_waitcnt lgkmcnt(0)
	v_mul_f64 v[52:53], v[48:49], v[71:72]
	s_waitcnt vmcnt(2)
	v_mul_f64 v[44:45], v[6:7], v[71:72]
	v_fma_f64 v[12:13], v[6:7], v[69:70], -v[52:53]
	buffer_store_dword v12, off, s[28:31], 0 offset:360 ; 4-byte Folded Spill
	buffer_store_dword v13, off, s[28:31], 0 offset:364 ; 4-byte Folded Spill
	v_fma_f64 v[6:7], v[48:49], v[69:70], v[44:45]
	buffer_store_dword v6, off, s[28:31], 0 offset:312 ; 4-byte Folded Spill
	buffer_store_dword v7, off, s[28:31], 0 offset:316 ; 4-byte Folded Spill
	buffer_load_dword v6, off, s[28:31], 0  ; 4-byte Folded Reload
	s_waitcnt vmcnt(0)
	v_mul_u32_u24_sdwa v44, v6, v77 dst_sel:DWORD dst_unused:UNUSED_PAD src0_sel:WORD_0 src1_sel:DWORD
	v_lshrrev_b32_e32 v44, 16, v44
	v_sub_nc_u16 v45, v6, v44
	v_lshrrev_b16 v45, 1, v45
	v_add_nc_u16 v44, v45, v44
	v_lshrrev_b16 v44, 5, v44
	v_mul_lo_u16 v44, v44, 49
	v_sub_nc_u16 v44, v6, v44
	v_and_b32_e32 v54, 0xffff, v44
	v_mul_u32_u24_e32 v44, 6, v54
	v_lshlrev_b32_e32 v55, 4, v44
	s_clause 0x1
	global_load_dwordx4 v[57:60], v55, s[12:13] offset:672
	global_load_dwordx4 v[69:72], v55, s[12:13] offset:688
	s_waitcnt vmcnt(1)
	v_mul_f64 v[44:45], v[50:51], v[59:60]
	v_fma_f64 v[6:7], v[8:9], v[57:58], -v[44:45]
	v_mul_f64 v[44:45], v[8:9], v[59:60]
	buffer_store_dword v6, off, s[28:31], 0 offset:216 ; 4-byte Folded Spill
	buffer_store_dword v7, off, s[28:31], 0 offset:220 ; 4-byte Folded Spill
	v_fma_f64 v[6:7], v[50:51], v[57:58], v[44:45]
	buffer_store_dword v6, off, s[28:31], 0 offset:192 ; 4-byte Folded Spill
	buffer_store_dword v7, off, s[28:31], 0 offset:196 ; 4-byte Folded Spill
	ds_read2_b64 v[44:47], v10 offset0:54 offset1:103
	s_clause 0x3
	buffer_load_dword v6, off, s[28:31], 0 offset:176
	buffer_load_dword v7, off, s[28:31], 0 offset:180
	;; [unrolled: 1-line block ×4, first 2 shown]
	s_waitcnt lgkmcnt(0)
	v_mul_f64 v[48:49], v[46:47], v[228:229]
	s_waitcnt vmcnt(0)
	v_mul_f64 v[42:43], v[8:9], v[228:229]
	v_mul_f64 v[40:41], v[6:7], v[222:223]
	v_fma_f64 v[73:74], v[8:9], v[226:227], -v[48:49]
	v_fma_f64 v[75:76], v[46:47], v[226:227], v[42:43]
	v_mul_f64 v[42:43], v[44:45], v[222:223]
	v_fma_f64 v[122:123], v[44:45], v[220:221], v[40:41]
	v_mov_b32_e32 v157, v74
	v_mov_b32_e32 v156, v73
	;; [unrolled: 1-line block ×4, first 2 shown]
	v_fma_f64 v[108:109], v[6:7], v[220:221], -v[42:43]
	ds_read2_b64 v[42:45], v81 offset0:84 offset1:133
	s_clause 0x3
	buffer_load_dword v6, off, s[28:31], 0 offset:144
	buffer_load_dword v7, off, s[28:31], 0 offset:148
	;; [unrolled: 1-line block ×4, first 2 shown]
	s_waitcnt lgkmcnt(0)
	v_mul_f64 v[40:41], v[44:45], v[222:223]
	s_waitcnt vmcnt(0)
	v_mul_f64 v[34:35], v[8:9], v[222:223]
	v_mul_f64 v[32:33], v[6:7], v[71:72]
	v_fma_f64 v[252:253], v[8:9], v[220:221], -v[40:41]
	v_fma_f64 v[77:78], v[44:45], v[220:221], v[34:35]
	v_mul_f64 v[44:45], v[42:43], v[71:72]
	v_fma_f64 v[220:221], v[6:7], v[69:70], -v[44:45]
	v_fma_f64 v[6:7], v[42:43], v[69:70], v[32:33]
	buffer_store_dword v6, off, s[28:31], 0 offset:144 ; 4-byte Folded Spill
	buffer_store_dword v7, off, s[28:31], 0 offset:148 ; 4-byte Folded Spill
	ds_read2_b64 v[42:45], v136 offset0:122 offset1:171
	s_clause 0x3
	buffer_load_dword v6, off, s[28:31], 0 offset:160
	buffer_load_dword v7, off, s[28:31], 0 offset:164
	;; [unrolled: 1-line block ×4, first 2 shown]
	s_clause 0x1
	global_load_dwordx4 v[46:49], v55, s[12:13] offset:704
	global_load_dwordx4 v[50:53], v55, s[12:13] offset:720
	s_waitcnt lgkmcnt(0)
	v_mul_f64 v[32:33], v[42:43], v[104:105]
	s_waitcnt vmcnt(4)
	v_fma_f64 v[34:35], v[6:7], v[102:103], -v[32:33]
	v_mul_f64 v[32:33], v[6:7], v[104:105]
	v_mov_b32_e32 v41, v35
	v_fma_f64 v[57:58], v[42:43], v[102:103], v[32:33]
	s_waitcnt vmcnt(1)
	v_mul_f64 v[32:33], v[44:45], v[48:49]
	v_mov_b32_e32 v103, v76
	v_mov_b32_e32 v102, v75
	v_mov_b32_e32 v40, v34
	v_fma_f64 v[6:7], v[8:9], v[46:47], -v[32:33]
	v_mul_f64 v[32:33], v[8:9], v[48:49]
	buffer_store_dword v6, off, s[28:31], 0 offset:176 ; 4-byte Folded Spill
	buffer_store_dword v7, off, s[28:31], 0 offset:180 ; 4-byte Folded Spill
	v_fma_f64 v[6:7], v[44:45], v[46:47], v[32:33]
	buffer_store_dword v6, off, s[28:31], 0 offset:160 ; 4-byte Folded Spill
	buffer_store_dword v7, off, s[28:31], 0 offset:164 ; 4-byte Folded Spill
	ds_read2_b64 v[36:39], v79 offset0:100 offset1:149
	s_clause 0x3
	buffer_load_dword v6, off, s[28:31], 0 offset:128
	buffer_load_dword v7, off, s[28:31], 0 offset:132
	;; [unrolled: 1-line block ×4, first 2 shown]
	s_waitcnt lgkmcnt(0)
	v_mul_f64 v[32:33], v[38:39], v[100:101]
	s_waitcnt vmcnt(0)
	v_mul_f64 v[30:31], v[8:9], v[100:101]
	v_mul_f64 v[28:29], v[6:7], v[232:233]
	v_fma_f64 v[134:135], v[8:9], v[98:99], -v[32:33]
	v_mov_b32_e32 v100, v172
	v_mov_b32_e32 v101, v173
	v_fma_f64 v[104:105], v[38:39], v[98:99], v[30:31]
	v_mul_f64 v[30:31], v[36:37], v[232:233]
	v_fma_f64 v[204:205], v[36:37], v[230:231], v[28:29]
	ds_read2_b64 v[36:39], v11 offset0:130 offset1:179
	v_mov_b32_e32 v99, v87
	v_mov_b32_e32 v98, v86
	;; [unrolled: 1-line block ×4, first 2 shown]
	v_fma_f64 v[222:223], v[6:7], v[230:231], -v[30:31]
	s_clause 0x3
	buffer_load_dword v6, off, s[28:31], 0 offset:96
	buffer_load_dword v7, off, s[28:31], 0 offset:100
	;; [unrolled: 1-line block ×4, first 2 shown]
	s_waitcnt lgkmcnt(0)
	v_mul_f64 v[28:29], v[38:39], v[232:233]
	s_waitcnt vmcnt(0)
	v_mul_f64 v[22:23], v[8:9], v[232:233]
	v_mul_f64 v[20:21], v[6:7], v[52:53]
	v_fma_f64 v[71:72], v[8:9], v[230:231], -v[28:29]
	v_add_nc_u32_e32 v233, 0x1000, v165
	v_mov_b32_e32 v232, v82
	v_fma_f64 v[112:113], v[38:39], v[230:231], v[22:23]
	v_mul_f64 v[22:23], v[36:37], v[52:53]
	v_add_f64 v[26:27], v[178:179], v[71:72]
	v_add_f64 v[46:47], v[180:181], -v[112:113]
	v_fma_f64 v[228:229], v[6:7], v[50:51], -v[22:23]
	v_fma_f64 v[6:7], v[36:37], v[50:51], v[20:21]
	buffer_store_dword v6, off, s[28:31], 0 offset:96 ; 4-byte Folded Spill
	buffer_store_dword v7, off, s[28:31], 0 offset:100 ; 4-byte Folded Spill
	ds_read2_b64 v[20:23], v18 offset0:168 offset1:217
	s_clause 0x3
	buffer_load_dword v6, off, s[28:31], 0 offset:112
	buffer_load_dword v7, off, s[28:31], 0 offset:116
	;; [unrolled: 1-line block ×4, first 2 shown]
	s_clause 0x1
	global_load_dwordx4 v[36:39], v55, s[12:13] offset:736
	global_load_dwordx4 v[42:45], v55, s[12:13] offset:752
	v_mov_b32_e32 v92, v228
	v_mov_b32_e32 v93, v229
	s_waitcnt lgkmcnt(0)
	v_mul_f64 v[32:33], v[20:21], v[63:64]
	s_waitcnt vmcnt(4)
	v_mul_f64 v[24:25], v[6:7], v[63:64]
	v_fma_f64 v[28:29], v[6:7], v[61:62], -v[32:33]
	v_fma_f64 v[61:62], v[20:21], v[61:62], v[24:25]
	s_waitcnt vmcnt(1)
	v_mul_f64 v[20:21], v[22:23], v[38:39]
	v_mov_b32_e32 v64, v29
	v_mov_b32_e32 v63, v28
	;; [unrolled: 1-line block ×4, first 2 shown]
	v_fma_f64 v[110:111], v[8:9], v[36:37], -v[20:21]
	v_mul_f64 v[20:21], v[8:9], v[38:39]
	v_mov_b32_e32 v34, v110
	v_fma_f64 v[249:250], v[22:23], v[36:37], v[20:21]
	ds_read_b64 v[20:21], v155 offset:18816
	s_clause 0x1
	buffer_load_dword v6, off, s[28:31], 0 offset:248
	buffer_load_dword v7, off, s[28:31], 0 offset:252
	v_mov_b32_e32 v35, v111
	v_add_f64 v[110:111], v[180:181], v[112:113]
	v_add_f64 v[112:113], v[178:179], -v[71:72]
	v_add_nc_u32_e32 v72, 0x3000, v155
	s_waitcnt vmcnt(2) lgkmcnt(0)
	v_mul_f64 v[22:23], v[20:21], v[44:45]
	s_waitcnt vmcnt(0)
	v_fma_f64 v[65:66], v[6:7], v[42:43], -v[22:23]
	v_mul_f64 v[22:23], v[6:7], v[44:45]
	v_fma_f64 v[254:255], v[20:21], v[42:43], v[22:23]
	ds_read2_b64 v[22:25], v131 offset0:136 offset1:185
	s_clause 0x3
	buffer_load_dword v6, off, s[28:31], 0 offset:80
	buffer_load_dword v7, off, s[28:31], 0 offset:84
	;; [unrolled: 1-line block ×4, first 2 shown]
	ds_read2_b64 v[142:145], v131 offset0:38 offset1:87
	s_clause 0x3
	buffer_load_dword v192, off, s[28:31], 0 offset:64
	buffer_load_dword v193, off, s[28:31], 0 offset:68
	;; [unrolled: 1-line block ×4, first 2 shown]
	s_waitcnt lgkmcnt(1)
	v_mul_f64 v[20:21], v[24:25], v[96:97]
	s_waitcnt vmcnt(4)
	v_fma_f64 v[246:247], v[8:9], v[94:95], -v[20:21]
	v_mul_f64 v[18:19], v[8:9], v[96:97]
	s_clause 0x3
	buffer_load_dword v8, off, s[28:31], 0 offset:48
	buffer_load_dword v9, off, s[28:31], 0 offset:52
	;; [unrolled: 1-line block ×4, first 2 shown]
	v_mul_f64 v[16:17], v[6:7], v[2:3]
	v_mov_b32_e32 v20, v116
	v_mov_b32_e32 v21, v117
	s_waitcnt vmcnt(6)
	v_mov_b32_e32 v184, v192
	v_mov_b32_e32 v185, v193
	v_mov_b32_e32 v96, v206
	v_mov_b32_e32 v97, v207
	v_fma_f64 v[230:231], v[24:25], v[94:95], v[18:19]
	v_mul_f64 v[18:19], v[22:23], v[2:3]
	v_fma_f64 v[148:149], v[22:23], v[0:1], v[16:17]
	s_waitcnt lgkmcnt(0)
	v_mul_f64 v[16:17], v[144:145], v[2:3]
	s_waitcnt vmcnt(4)
	v_mul_f64 v[2:3], v[194:195], v[2:3]
	v_mov_b32_e32 v22, v122
	v_mov_b32_e32 v23, v123
	;; [unrolled: 1-line block ×8, first 2 shown]
	v_fma_f64 v[196:197], v[6:7], v[0:1], -v[18:19]
	v_fma_f64 v[30:31], v[194:195], v[0:1], -v[16:17]
	v_fma_f64 v[2:3], v[144:145], v[0:1], v[2:3]
	v_add_f64 v[0:1], v[252:253], v[166:167]
	ds_read2_b64 v[168:171], v155 offset1:49
	ds_read2_b64 v[158:161], v155 offset0:98 offset1:147
	ds_read2_b64 v[144:147], v155 offset0:196 offset1:245
	s_waitcnt vmcnt(0) lgkmcnt(0)
	s_waitcnt_vscnt null, 0x0
	s_barrier
	buffer_gl0_inv
	v_add_f64 v[24:25], v[30:31], v[114:115]
	v_add_f64 v[50:51], v[2:3], -v[163:164]
	v_add_f64 v[36:37], v[0:1], -v[26:27]
	;; [unrolled: 1-line block ×3, first 2 shown]
	v_add_f64 v[6:7], v[26:27], v[24:25]
	v_add_f64 v[18:19], v[24:25], -v[0:1]
	v_add_f64 v[6:7], v[0:1], v[6:7]
	v_add_f64 v[0:1], v[106:107], -v[77:78]
	v_mul_f64 v[32:33], v[18:19], s[2:3]
	v_add_f64 v[18:19], v[0:1], -v[46:47]
	v_add_f64 v[38:39], v[0:1], v[46:47]
	v_add_f64 v[42:43], v[50:51], -v[0:1]
	v_fma_f64 v[0:1], v[36:37], s[14:15], v[32:33]
	v_mul_f64 v[44:45], v[18:19], s[8:9]
	v_add_f64 v[38:39], v[38:39], v[50:51]
	v_add_f64 v[52:53], v[8:9], v[6:7]
	v_fma_f64 v[48:49], v[6:7], s[4:5], v[52:53]
	v_add_f64 v[6:7], v[26:27], -v[24:25]
	v_mul_f64 v[24:25], v[36:37], s[14:15]
	v_add_f64 v[12:13], v[0:1], v[48:49]
	v_fma_f64 v[0:1], v[42:43], s[6:7], v[44:45]
	v_fma_f64 v[24:25], v[6:7], s[18:19], -v[24:25]
	v_fma_f64 v[6:7], v[6:7], s[22:23], -v[32:33]
	v_fma_f64 v[18:19], v[38:39], s[0:1], v[0:1]
	v_add_f64 v[24:25], v[24:25], v[48:49]
	v_add_f64 v[6:7], v[6:7], v[48:49]
	;; [unrolled: 1-line block ×3, first 2 shown]
	v_add_f64 v[12:13], v[12:13], -v[18:19]
	ds_write2_b64 v155, v[52:53], v[0:1] offset1:49
	v_add_f64 v[0:1], v[46:47], -v[50:51]
	v_mul_f64 v[26:27], v[0:1], s[16:17]
	v_fma_f64 v[0:1], v[0:1], s[16:17], -v[44:45]
	v_fma_f64 v[26:27], v[42:43], s[20:21], -v[26:27]
	v_fma_f64 v[0:1], v[38:39], s[0:1], v[0:1]
	v_fma_f64 v[26:27], v[38:39], s[0:1], v[26:27]
	v_add_f64 v[36:37], v[24:25], -v[0:1]
	v_add_f64 v[0:1], v[0:1], v[24:25]
	v_add_f64 v[24:25], v[108:109], v[138:139]
	;; [unrolled: 1-line block ×3, first 2 shown]
	v_add_f64 v[6:7], v[6:7], -v[26:27]
	ds_write2_b64 v155, v[32:33], v[36:37] offset0:98 offset1:147
	ds_write2_b64 v155, v[0:1], v[6:7] offset0:196 offset1:245
	v_add_f64 v[0:1], v[196:197], v[140:141]
	v_add_f64 v[6:7], v[214:215], v[222:223]
	v_add_f64 v[18:19], v[0:1], -v[24:25]
	v_add_f64 v[26:27], v[6:7], v[0:1]
	v_add_f64 v[0:1], v[6:7], -v[0:1]
	v_mul_f64 v[18:19], v[18:19], s[2:3]
	v_add_f64 v[26:27], v[24:25], v[26:27]
	v_add_f64 v[24:25], v[24:25], -v[6:7]
	v_add_f64 v[14:15], v[10:11], v[26:27]
	ds_write2_b64 v131, v[12:13], v[14:15] offset0:38 offset1:87
	v_fma_f64 v[6:7], v[26:27], s[4:5], v[14:15]
	v_add_f64 v[12:13], v[202:203], -v[204:205]
	v_add_f64 v[14:15], v[190:191], -v[22:23]
	;; [unrolled: 1-line block ×3, first 2 shown]
	v_add_f64 v[22:23], v[22:23], v[190:191]
	v_add_f64 v[32:33], v[14:15], v[12:13]
	v_add_f64 v[36:37], v[14:15], -v[12:13]
	v_add_f64 v[12:13], v[12:13], -v[26:27]
	;; [unrolled: 1-line block ×3, first 2 shown]
	v_add_f64 v[26:27], v[32:33], v[26:27]
	v_mul_f64 v[32:33], v[36:37], s[8:9]
	v_fma_f64 v[36:37], v[24:25], s[14:15], v[18:19]
	v_mul_f64 v[24:25], v[24:25], s[14:15]
	v_fma_f64 v[18:19], v[0:1], s[22:23], -v[18:19]
	v_mul_f64 v[38:39], v[12:13], s[16:17]
	v_fma_f64 v[12:13], v[12:13], s[16:17], -v[32:33]
	v_add_f64 v[36:37], v[36:37], v[6:7]
	v_fma_f64 v[0:1], v[0:1], s[18:19], -v[24:25]
	v_add_f64 v[18:19], v[18:19], v[6:7]
	v_fma_f64 v[38:39], v[14:15], s[20:21], -v[38:39]
	v_fma_f64 v[14:15], v[14:15], s[6:7], v[32:33]
	v_add_f64 v[32:33], v[230:231], -v[98:99]
	v_add_f64 v[0:1], v[0:1], v[6:7]
	v_fma_f64 v[6:7], v[26:27], s[0:1], v[12:13]
	v_fma_f64 v[38:39], v[26:27], s[0:1], v[38:39]
	;; [unrolled: 1-line block ×3, first 2 shown]
	v_add_f64 v[26:27], v[188:189], -v[102:103]
	v_add_f64 v[12:13], v[0:1], -v[6:7]
	v_add_f64 v[0:1], v[6:7], v[0:1]
	v_add_f64 v[42:43], v[14:15], v[36:37]
	v_add_f64 v[44:45], v[38:39], v[18:19]
	v_add_f64 v[6:7], v[36:37], -v[14:15]
	ds_write2_b64 v82, v[12:13], v[0:1] offset0:106 offset1:155
	v_add_f64 v[0:1], v[18:19], -v[38:39]
	ds_write2_b64 v131, v[42:43], v[44:45] offset0:136 offset1:185
	ds_write2_b64 v130, v[0:1], v[6:7] offset0:76 offset1:125
	s_clause 0x3
	buffer_load_dword v8, off, s[28:31], 0 offset:32
	buffer_load_dword v9, off, s[28:31], 0 offset:36
	;; [unrolled: 1-line block ×4, first 2 shown]
	v_add_f64 v[0:1], v[246:247], v[132:133]
	v_add_f64 v[6:7], v[210:211], v[134:135]
	v_mov_b32_e32 v130, v216
	v_mov_b32_e32 v131, v217
	;; [unrolled: 1-line block ×4, first 2 shown]
	v_add_nc_u32_e32 v236, 0x3000, v234
	v_lshl_add_u32 v237, v56, 3, 0
	v_add_f64 v[12:13], v[156:157], v[130:131]
	v_add_f64 v[24:25], v[216:217], -v[104:105]
	v_add_nc_u32_e32 v248, 0x3000, v237
	v_add_nc_u32_e32 v251, 0x3800, v237
	v_add_f64 v[14:15], v[6:7], v[0:1]
	v_add_f64 v[18:19], v[0:1], -v[12:13]
	v_add_f64 v[0:1], v[6:7], -v[0:1]
	;; [unrolled: 1-line block ×3, first 2 shown]
	v_add_f64 v[38:39], v[26:27], v[24:25]
	v_add_f64 v[26:27], v[32:33], -v[26:27]
	v_add_f64 v[14:15], v[12:13], v[14:15]
	v_add_f64 v[12:13], v[12:13], -v[6:7]
	v_mul_f64 v[18:19], v[18:19], s[2:3]
	v_mul_f64 v[36:37], v[36:37], s[8:9]
	v_add_f64 v[38:39], v[38:39], v[32:33]
	v_mul_f64 v[6:7], v[12:13], s[14:15]
	v_fma_f64 v[42:43], v[12:13], s[14:15], v[18:19]
	v_fma_f64 v[44:45], v[26:27], s[6:7], v[36:37]
	v_fma_f64 v[6:7], v[0:1], s[18:19], -v[6:7]
	v_fma_f64 v[0:1], v[0:1], s[22:23], -v[18:19]
	v_fma_f64 v[44:45], v[38:39], s[0:1], v[44:45]
	s_waitcnt vmcnt(2)
	v_add_f64 v[8:9], v[8:9], v[14:15]
	v_fma_f64 v[14:15], v[14:15], s[4:5], v[8:9]
	v_add_f64 v[42:43], v[42:43], v[14:15]
	v_add_f64 v[6:7], v[6:7], v[14:15]
	v_add_f64 v[0:1], v[0:1], v[14:15]
	v_add_f64 v[46:47], v[44:45], v[42:43]
	ds_write2_b64 v233, v[8:9], v[46:47] offset0:174 offset1:223
	v_add_f64 v[8:9], v[24:25], -v[32:33]
	v_mul_f64 v[12:13], v[8:9], s[16:17]
	v_fma_f64 v[8:9], v[8:9], s[16:17], -v[36:37]
	v_fma_f64 v[12:13], v[26:27], s[20:21], -v[12:13]
	v_fma_f64 v[8:9], v[38:39], s[0:1], v[8:9]
	v_fma_f64 v[12:13], v[38:39], s[0:1], v[12:13]
	v_add_f64 v[18:19], v[6:7], -v[8:9]
	v_add_f64 v[6:7], v[8:9], v[6:7]
	v_add_f64 v[14:15], v[12:13], v[0:1]
	v_add_f64 v[0:1], v[0:1], -v[12:13]
	ds_write2_b64 v162, v[14:15], v[18:19] offset0:16 offset1:65
	ds_write2_b64 v162, v[6:7], v[0:1] offset0:114 offset1:163
	s_clause 0x5
	buffer_load_dword v116, off, s[28:31], 0 offset:344
	buffer_load_dword v117, off, s[28:31], 0 offset:348
	;; [unrolled: 1-line block ×6, first 2 shown]
	v_add_f64 v[0:1], v[224:225], v[212:213]
	v_add_f64 v[6:7], v[122:123], v[118:119]
	v_add_f64 v[18:19], v[88:89], -v[86:87]
	v_add_f64 v[12:13], v[6:7], v[0:1]
	s_waitcnt vmcnt(4)
	v_add_f64 v[8:9], v[100:101], v[116:117]
	s_waitcnt vmcnt(2)
	v_add_f64 v[24:25], v[186:187], -v[84:85]
	s_waitcnt vmcnt(0)
	v_add_f64 v[26:27], v[94:95], -v[226:227]
	v_add_f64 v[12:13], v[8:9], v[12:13]
	v_add_f64 v[14:15], v[0:1], -v[8:9]
	v_add_f64 v[32:33], v[24:25], -v[18:19]
	;; [unrolled: 1-line block ×3, first 2 shown]
	v_add_f64 v[36:37], v[24:25], v[18:19]
	v_add_f64 v[24:25], v[26:27], -v[24:25]
	v_add_f64 v[0:1], v[6:7], -v[0:1]
	v_add_f64 v[10:11], v[10:11], v[12:13]
	v_mul_f64 v[14:15], v[14:15], s[2:3]
	v_mul_f64 v[32:33], v[32:33], s[8:9]
	;; [unrolled: 1-line block ×3, first 2 shown]
	v_add_f64 v[36:37], v[36:37], v[26:27]
	v_fma_f64 v[12:13], v[12:13], s[4:5], v[10:11]
	v_fma_f64 v[38:39], v[8:9], s[14:15], v[14:15]
	;; [unrolled: 1-line block ×3, first 2 shown]
	v_fma_f64 v[6:7], v[0:1], s[18:19], -v[6:7]
	v_fma_f64 v[0:1], v[0:1], s[22:23], -v[14:15]
	v_add_f64 v[38:39], v[38:39], v[12:13]
	v_fma_f64 v[46:47], v[36:37], s[0:1], v[46:47]
	v_add_f64 v[6:7], v[6:7], v[12:13]
	v_add_f64 v[0:1], v[0:1], v[12:13]
	;; [unrolled: 1-line block ×3, first 2 shown]
	ds_write2_b64 v182, v[10:11], v[48:49] offset0:5 offset1:54
	v_add_f64 v[10:11], v[18:19], -v[26:27]
	v_mul_f64 v[8:9], v[10:11], s[16:17]
	v_fma_f64 v[10:11], v[10:11], s[16:17], -v[32:33]
	v_fma_f64 v[8:9], v[24:25], s[20:21], -v[8:9]
	v_fma_f64 v[10:11], v[36:37], s[0:1], v[10:11]
	v_fma_f64 v[8:9], v[36:37], s[0:1], v[8:9]
	v_add_f64 v[14:15], v[6:7], -v[10:11]
	v_add_f64 v[6:7], v[10:11], v[6:7]
	v_add_f64 v[12:13], v[8:9], v[0:1]
	v_add_f64 v[0:1], v[0:1], -v[8:9]
	ds_write2_b64 v182, v[12:13], v[14:15] offset0:103 offset1:152
	ds_write2_b64 v182, v[6:7], v[0:1] offset0:201 offset1:250
	s_clause 0xb
	buffer_load_dword v126, off, s[28:31], 0 offset:304
	buffer_load_dword v127, off, s[28:31], 0 offset:308
	;; [unrolled: 1-line block ×12, first 2 shown]
	v_add_f64 v[6:7], v[242:243], v[90:91]
	v_add_f64 v[14:15], v[152:153], -v[238:239]
	s_waitcnt vmcnt(10)
	v_add_f64 v[0:1], v[126:127], v[120:121]
	s_waitcnt vmcnt(8)
	v_add_f64 v[8:9], v[192:193], v[96:97]
	s_waitcnt vmcnt(6)
	v_add_f64 v[18:19], v[124:125], -v[194:195]
	s_waitcnt vmcnt(4)
	v_add_f64 v[26:27], v[75:76], -v[73:74]
	v_add_f64 v[10:11], v[6:7], v[0:1]
	v_add_f64 v[12:13], v[8:9], -v[6:7]
	v_add_f64 v[24:25], v[18:19], -v[14:15]
	v_add_f64 v[32:33], v[18:19], v[14:15]
	v_add_f64 v[18:19], v[26:27], -v[18:19]
	v_add_f64 v[10:11], v[8:9], v[10:11]
	v_add_f64 v[8:9], v[0:1], -v[8:9]
	v_mul_f64 v[24:25], v[24:25], s[8:9]
	v_add_f64 v[0:1], v[6:7], -v[0:1]
	v_add_f64 v[6:7], v[14:15], -v[26:27]
	v_add_f64 v[32:33], v[32:33], v[26:27]
	s_waitcnt vmcnt(2)
	v_add_f64 v[36:37], v[172:173], v[10:11]
	v_mul_f64 v[8:9], v[8:9], s[2:3]
	v_fma_f64 v[50:51], v[18:19], s[6:7], v[24:25]
	v_fma_f64 v[10:11], v[10:11], s[4:5], v[36:37]
	;; [unrolled: 1-line block ×3, first 2 shown]
	v_mul_f64 v[12:13], v[12:13], s[14:15]
	v_fma_f64 v[50:51], v[32:33], s[0:1], v[50:51]
	v_add_f64 v[48:49], v[48:49], v[10:11]
	v_fma_f64 v[12:13], v[0:1], s[18:19], -v[12:13]
	v_fma_f64 v[0:1], v[0:1], s[22:23], -v[8:9]
	;; [unrolled: 1-line block ×3, first 2 shown]
	v_mul_f64 v[6:7], v[6:7], s[16:17]
	v_add_f64 v[52:53], v[50:51], v[48:49]
	v_add_f64 v[12:13], v[12:13], v[10:11]
	v_add_f64 v[0:1], v[0:1], v[10:11]
	v_fma_f64 v[8:9], v[32:33], s[0:1], v[8:9]
	v_fma_f64 v[6:7], v[18:19], s[20:21], -v[6:7]
	ds_write2_b64 v235, v[36:37], v[52:53] offset0:92 offset1:141
	v_add_f64 v[10:11], v[12:13], -v[8:9]
	v_fma_f64 v[6:7], v[32:33], s[0:1], v[6:7]
	v_add_f64 v[8:9], v[8:9], v[12:13]
	v_add_f64 v[14:15], v[6:7], v[0:1]
	v_add_f64 v[0:1], v[0:1], -v[6:7]
	ds_write2_b64 v235, v[14:15], v[10:11] offset0:190 offset1:239
	ds_write2_b64 v236, v[8:9], v[0:1] offset0:32 offset1:81
	s_clause 0xf
	buffer_load_dword v218, off, s[28:31], 0 offset:336
	buffer_load_dword v219, off, s[28:31], 0 offset:340
	;; [unrolled: 1-line block ×16, first 2 shown]
	s_waitcnt vmcnt(12)
	v_add_f64 v[0:1], v[240:241], v[218:219]
	s_waitcnt vmcnt(10)
	v_add_f64 v[6:7], v[69:70], v[63:64]
	;; [unrolled: 2-line block ×3, first 2 shown]
	s_waitcnt vmcnt(6)
	v_add_f64 v[18:19], v[176:177], -v[61:62]
	s_waitcnt vmcnt(4)
	v_add_f64 v[24:25], v[208:209], -v[28:29]
	;; [unrolled: 2-line block ×3, first 2 shown]
	v_add_f64 v[10:11], v[6:7], v[0:1]
	v_add_f64 v[14:15], v[0:1], -v[8:9]
	v_add_f64 v[0:1], v[6:7], -v[0:1]
	;; [unrolled: 1-line block ×3, first 2 shown]
	v_add_f64 v[32:33], v[24:25], v[18:19]
	v_add_f64 v[24:25], v[26:27], -v[24:25]
	v_add_f64 v[10:11], v[8:9], v[10:11]
	v_add_f64 v[8:9], v[8:9], -v[6:7]
	v_mul_f64 v[14:15], v[14:15], s[2:3]
	v_mul_f64 v[36:37], v[36:37], s[8:9]
	v_add_f64 v[32:33], v[32:33], v[26:27]
	v_add_f64 v[6:7], v[18:19], -v[26:27]
	v_add_f64 v[12:13], v[174:175], v[10:11]
	v_fma_f64 v[52:53], v[8:9], s[14:15], v[14:15]
	v_fma_f64 v[57:58], v[24:25], s[6:7], v[36:37]
	v_mul_f64 v[8:9], v[8:9], s[14:15]
	v_fma_f64 v[10:11], v[10:11], s[4:5], v[12:13]
	v_fma_f64 v[57:58], v[32:33], s[0:1], v[57:58]
	v_fma_f64 v[8:9], v[0:1], s[18:19], -v[8:9]
	v_fma_f64 v[0:1], v[0:1], s[22:23], -v[14:15]
	v_add_f64 v[52:53], v[52:53], v[10:11]
	v_add_f64 v[8:9], v[8:9], v[10:11]
	;; [unrolled: 1-line block ×4, first 2 shown]
	ds_write2_b64 v248, v[12:13], v[55:56] offset0:179 offset1:228
	v_mul_f64 v[12:13], v[6:7], s[16:17]
	v_fma_f64 v[6:7], v[6:7], s[16:17], -v[36:37]
	v_fma_f64 v[12:13], v[24:25], s[20:21], -v[12:13]
	v_fma_f64 v[6:7], v[32:33], s[0:1], v[6:7]
	v_fma_f64 v[10:11], v[32:33], s[0:1], v[12:13]
	v_add_f64 v[14:15], v[8:9], -v[6:7]
	v_add_f64 v[6:7], v[6:7], v[8:9]
	v_add_f64 v[12:13], v[10:11], v[0:1]
	v_add_f64 v[0:1], v[0:1], -v[10:11]
	ds_write2_b64 v251, v[12:13], v[14:15] offset0:21 offset1:70
	ds_write2_b64 v251, v[6:7], v[0:1] offset0:119 offset1:168
	s_clause 0xb
	buffer_load_dword v172, off, s[28:31], 0 offset:216
	buffer_load_dword v173, off, s[28:31], 0 offset:220
	;; [unrolled: 1-line block ×12, first 2 shown]
	v_add_f64 v[6:7], v[220:221], v[34:35]
	s_waitcnt vmcnt(10)
	v_add_f64 v[0:1], v[172:173], v[65:66]
	s_waitcnt vmcnt(8)
	;; [unrolled: 2-line block ×3, first 2 shown]
	v_add_f64 v[18:19], v[128:129], -v[82:83]
	s_waitcnt vmcnt(0)
	v_add_f64 v[24:25], v[174:175], -v[254:255]
	v_add_f64 v[10:11], v[6:7], v[0:1]
	v_add_f64 v[12:13], v[0:1], -v[8:9]
	v_add_f64 v[0:1], v[6:7], -v[0:1]
	v_add_f64 v[10:11], v[8:9], v[10:11]
	v_add_f64 v[8:9], v[8:9], -v[6:7]
	v_mul_f64 v[12:13], v[12:13], s[2:3]
	v_add_f64 v[4:5], v[184:185], v[10:11]
	v_mov_b32_e32 v184, v249
	v_mov_b32_e32 v185, v250
	v_fma_f64 v[36:37], v[8:9], s[14:15], v[12:13]
	v_lshl_add_u32 v249, v54, 3, 0
	v_mul_f64 v[6:7], v[8:9], s[14:15]
	v_add_f64 v[14:15], v[228:229], -v[184:185]
	v_add_nc_u32_e32 v250, 0x4000, v249
	v_fma_f64 v[10:11], v[10:11], s[4:5], v[4:5]
	v_fma_f64 v[6:7], v[0:1], s[18:19], -v[6:7]
	v_fma_f64 v[0:1], v[0:1], s[22:23], -v[12:13]
	v_add_f64 v[26:27], v[18:19], -v[14:15]
	v_add_f64 v[32:33], v[18:19], v[14:15]
	v_add_f64 v[18:19], v[24:25], -v[18:19]
	v_add_f64 v[36:37], v[36:37], v[10:11]
	v_add_f64 v[6:7], v[6:7], v[10:11]
	;; [unrolled: 1-line block ×3, first 2 shown]
	v_mul_f64 v[26:27], v[26:27], s[8:9]
	v_add_f64 v[32:33], v[32:33], v[24:25]
	v_fma_f64 v[55:56], v[18:19], s[6:7], v[26:27]
	v_fma_f64 v[55:56], v[32:33], s[0:1], v[55:56]
	v_add_f64 v[59:60], v[55:56], v[36:37]
	ds_write2_b64 v250, v[4:5], v[59:60] offset0:10 offset1:59
	v_add_f64 v[4:5], v[14:15], -v[24:25]
	v_add_f64 v[14:15], v[166:167], -v[252:253]
	v_add_nc_u32_e32 v60, 0x2000, v155
	v_mul_f64 v[8:9], v[4:5], s[16:17]
	v_fma_f64 v[4:5], v[4:5], s[16:17], -v[26:27]
	v_add_f64 v[178:179], v[114:115], -v[14:15]
	v_fma_f64 v[8:9], v[18:19], s[20:21], -v[8:9]
	v_fma_f64 v[4:5], v[32:33], s[0:1], v[4:5]
	v_add_nc_u32_e32 v19, 0x1800, v155
	v_mov_b32_e32 v18, v60
	v_fma_f64 v[8:9], v[32:33], s[0:1], v[8:9]
	v_add_f64 v[12:13], v[6:7], -v[4:5]
	v_add_f64 v[4:5], v[4:5], v[6:7]
	v_add_f64 v[6:7], v[48:49], -v[50:51]
	v_add_f64 v[10:11], v[8:9], v[0:1]
	v_add_f64 v[0:1], v[0:1], -v[8:9]
	v_add_f64 v[8:9], v[52:53], -v[57:58]
	ds_write2_b64 v250, v[10:11], v[12:13] offset0:108 offset1:157
	ds_write2_b64 v250, v[4:5], v[0:1] offset0:206 offset1:255
	v_add_f64 v[0:1], v[2:3], v[163:164]
	v_add_f64 v[2:3], v[42:43], -v[44:45]
	v_add_f64 v[4:5], v[38:39], -v[46:47]
	;; [unrolled: 1-line block ×3, first 2 shown]
	v_add_f64 v[12:13], v[77:78], v[106:107]
	ds_write_b64 v165, v[2:3] offset:7840
	ds_write_b64 v183, v[4:5] offset:10584
	;; [unrolled: 1-line block ×5, first 2 shown]
	v_add_f64 v[2:3], v[110:111], v[0:1]
	v_add_f64 v[6:7], v[14:15], v[112:113]
	v_add_f64 v[4:5], v[0:1], -v[12:13]
	v_add_f64 v[36:37], v[12:13], -v[110:111]
	s_waitcnt lgkmcnt(0)
	s_barrier
	buffer_gl0_inv
	v_add_nc_u32_e32 v46, 0x3800, v155
	v_add_f64 v[0:1], v[110:111], -v[0:1]
	v_add_f64 v[2:3], v[12:13], v[2:3]
	v_add_f64 v[24:25], v[6:7], v[114:115]
	v_mul_f64 v[38:39], v[4:5], s[2:3]
	v_add_f64 v[4:5], v[14:15], -v[112:113]
	v_add_f64 v[26:27], v[168:169], v[2:3]
	v_mul_f64 v[180:181], v[4:5], s[8:9]
	v_fma_f64 v[4:5], v[36:37], s[14:15], v[38:39]
	v_mul_f64 v[36:37], v[36:37], s[14:15]
	v_fma_f64 v[2:3], v[2:3], s[4:5], v[26:27]
	v_fma_f64 v[36:37], v[0:1], s[18:19], -v[36:37]
	v_fma_f64 v[0:1], v[0:1], s[22:23], -v[38:39]
	v_add_f64 v[106:107], v[4:5], v[2:3]
	v_fma_f64 v[4:5], v[178:179], s[6:7], v[180:181]
	v_add_f64 v[36:37], v[36:37], v[2:3]
	v_add_f64 v[0:1], v[0:1], v[2:3]
	v_fma_f64 v[252:253], v[24:25], s[0:1], v[4:5]
	ds_read_b64 v[4:5], v155 offset:18816
	s_waitcnt lgkmcnt(0)
	buffer_store_dword v4, off, s[28:31], 0 offset:64 ; 4-byte Folded Spill
	buffer_store_dword v5, off, s[28:31], 0 offset:68 ; 4-byte Folded Spill
	ds_read2_b64 v[4:7], v155 offset1:49
	s_waitcnt lgkmcnt(0)
	buffer_store_dword v4, off, s[28:31], 0 offset:408 ; 4-byte Folded Spill
	buffer_store_dword v5, off, s[28:31], 0 offset:412 ; 4-byte Folded Spill
	buffer_store_dword v6, off, s[28:31], 0 offset:416 ; 4-byte Folded Spill
	buffer_store_dword v7, off, s[28:31], 0 offset:420 ; 4-byte Folded Spill
	ds_read2_b64 v[4:7], v151 offset0:38 offset1:87
	s_waitcnt lgkmcnt(0)
	buffer_store_dword v4, off, s[28:31], 0 offset:32 ; 4-byte Folded Spill
	buffer_store_dword v5, off, s[28:31], 0 offset:36 ; 4-byte Folded Spill
	buffer_store_dword v6, off, s[28:31], 0 offset:40 ; 4-byte Folded Spill
	buffer_store_dword v7, off, s[28:31], 0 offset:44 ; 4-byte Folded Spill
	ds_read2_b64 v[4:7], v137 offset0:174 offset1:223
	;; [unrolled: 6-line block ×12, first 2 shown]
	ds_read2_b64 v[4:7], v154 offset0:108 offset1:157
	s_waitcnt lgkmcnt(0)
	buffer_store_dword v4, off, s[28:31], 0 offset:488 ; 4-byte Folded Spill
	buffer_store_dword v5, off, s[28:31], 0 offset:492 ; 4-byte Folded Spill
	;; [unrolled: 1-line block ×4, first 2 shown]
	v_add_f64 v[163:164], v[106:107], -v[252:253]
	ds_read2_b64 v[30:33], v232 offset0:106 offset1:155
	ds_read2_b64 v[4:7], v60 offset0:152 offset1:201
	;; [unrolled: 1-line block ×4, first 2 shown]
	s_waitcnt lgkmcnt(0)
	buffer_store_dword v78, off, s[28:31], 0 offset:48 ; 4-byte Folded Spill
	buffer_store_dword v79, off, s[28:31], 0 offset:52 ; 4-byte Folded Spill
	;; [unrolled: 1-line block ×4, first 2 shown]
	ds_read2_b64 v[78:81], v19 offset0:114 offset1:163
	ds_read2_b64 v[47:50], v72 offset0:32 offset1:81
	;; [unrolled: 1-line block ×6, first 2 shown]
	s_waitcnt lgkmcnt(0)
	s_waitcnt_vscnt null, 0x0
	s_barrier
	buffer_gl0_inv
	ds_write2_b64 v155, v[26:27], v[163:164] offset1:49
	v_add_f64 v[26:27], v[112:113], -v[114:115]
	v_add_f64 v[106:107], v[252:253], v[106:107]
	v_mov_b32_e32 v19, v155
	v_mov_b32_e32 v46, v137
	v_mul_f64 v[38:39], v[26:27], s[16:17]
	v_fma_f64 v[26:27], v[26:27], s[16:17], -v[180:181]
	v_fma_f64 v[38:39], v[178:179], s[20:21], -v[38:39]
	v_fma_f64 v[2:3], v[24:25], s[0:1], v[38:39]
	v_fma_f64 v[24:25], v[24:25], s[0:1], v[26:27]
	v_add_f64 v[26:27], v[0:1], -v[2:3]
	v_add_f64 v[38:39], v[24:25], v[36:37]
	v_add_f64 v[24:25], v[36:37], -v[24:25]
	v_add_f64 v[0:1], v[2:3], v[0:1]
	v_add_f64 v[2:3], v[202:203], v[204:205]
	ds_write2_b64 v155, v[26:27], v[38:39] offset0:98 offset1:147
	v_add_f64 v[26:27], v[138:139], -v[108:109]
	ds_write2_b64 v155, v[24:25], v[0:1] offset0:196 offset1:245
	v_add_f64 v[0:1], v[148:149], v[20:21]
	v_add_f64 v[24:25], v[214:215], -v[222:223]
	v_add_f64 v[20:21], v[196:197], -v[140:141]
	v_add_f64 v[36:37], v[2:3], v[0:1]
	v_add_f64 v[38:39], v[0:1], -v[22:23]
	v_add_f64 v[0:1], v[2:3], -v[0:1]
	;; [unrolled: 1-line block ×3, first 2 shown]
	v_add_f64 v[108:109], v[26:27], v[24:25]
	v_add_f64 v[24:25], v[24:25], -v[20:21]
	v_add_f64 v[26:27], v[20:21], -v[26:27]
	v_add_f64 v[36:37], v[22:23], v[36:37]
	v_add_f64 v[22:23], v[22:23], -v[2:3]
	v_add_f64 v[20:21], v[108:109], v[20:21]
	v_mul_f64 v[108:109], v[24:25], s[16:17]
	v_add_f64 v[2:3], v[170:171], v[36:37]
	v_fma_f64 v[108:109], v[26:27], s[20:21], -v[108:109]
	ds_write2_b64 v151, v[106:107], v[2:3] offset0:38 offset1:87
	v_fma_f64 v[2:3], v[36:37], s[4:5], v[2:3]
	v_mul_f64 v[36:37], v[38:39], s[2:3]
	v_mul_f64 v[38:39], v[110:111], s[8:9]
	v_fma_f64 v[108:109], v[20:21], s[0:1], v[108:109]
	v_fma_f64 v[106:107], v[22:23], s[14:15], v[36:37]
	v_mul_f64 v[22:23], v[22:23], s[14:15]
	v_fma_f64 v[36:37], v[0:1], s[22:23], -v[36:37]
	v_fma_f64 v[26:27], v[26:27], s[6:7], v[38:39]
	v_add_f64 v[106:107], v[106:107], v[2:3]
	v_fma_f64 v[0:1], v[0:1], s[18:19], -v[22:23]
	v_fma_f64 v[22:23], v[24:25], s[16:17], -v[38:39]
	v_add_f64 v[36:37], v[36:37], v[2:3]
	v_fma_f64 v[26:27], v[20:21], s[0:1], v[26:27]
	v_add_f64 v[24:25], v[210:211], -v[134:135]
	v_add_f64 v[0:1], v[0:1], v[2:3]
	v_fma_f64 v[2:3], v[20:21], s[0:1], v[22:23]
	v_add_f64 v[112:113], v[36:37], -v[108:109]
	v_add_f64 v[110:111], v[106:107], -v[26:27]
	;; [unrolled: 1-line block ×3, first 2 shown]
	v_add_f64 v[20:21], v[2:3], v[0:1]
	v_add_f64 v[0:1], v[0:1], -v[2:3]
	v_add_f64 v[2:3], v[26:27], v[106:107]
	v_add_f64 v[26:27], v[130:131], -v[156:157]
	ds_write2_b64 v151, v[110:111], v[112:113] offset0:136 offset1:185
	ds_write2_b64 v232, v[20:21], v[0:1] offset0:106 offset1:155
	v_add_f64 v[0:1], v[108:109], v[36:37]
	v_add_f64 v[20:21], v[102:103], v[188:189]
	;; [unrolled: 1-line block ×3, first 2 shown]
	v_add_f64 v[106:107], v[26:27], -v[24:25]
	v_add_f64 v[26:27], v[22:23], -v[26:27]
	ds_write2_b64 v137, v[0:1], v[2:3] offset0:76 offset1:125
	v_add_f64 v[0:1], v[230:231], v[98:99]
	v_add_f64 v[2:3], v[216:217], v[104:105]
	;; [unrolled: 1-line block ×3, first 2 shown]
	v_add_f64 v[22:23], v[24:25], -v[22:23]
	v_mul_f64 v[106:107], v[106:107], s[8:9]
	v_add_f64 v[36:37], v[2:3], v[0:1]
	v_add_f64 v[38:39], v[20:21], -v[2:3]
	v_fma_f64 v[112:113], v[26:27], s[6:7], v[106:107]
	v_add_f64 v[36:37], v[20:21], v[36:37]
	v_add_f64 v[20:21], v[0:1], -v[20:21]
	v_add_f64 v[0:1], v[2:3], -v[0:1]
	v_mul_f64 v[2:3], v[38:39], s[14:15]
	v_fma_f64 v[112:113], v[108:109], s[0:1], v[112:113]
	v_add_f64 v[102:103], v[158:159], v[36:37]
	v_mul_f64 v[20:21], v[20:21], s[2:3]
	v_fma_f64 v[2:3], v[0:1], s[18:19], -v[2:3]
	v_fma_f64 v[36:37], v[36:37], s[4:5], v[102:103]
	v_fma_f64 v[110:111], v[38:39], s[14:15], v[20:21]
	v_fma_f64 v[0:1], v[0:1], s[22:23], -v[20:21]
	v_mul_f64 v[20:21], v[22:23], s[16:17]
	v_fma_f64 v[22:23], v[22:23], s[16:17], -v[106:107]
	v_add_f64 v[2:3], v[2:3], v[36:37]
	v_add_f64 v[110:111], v[110:111], v[36:37]
	;; [unrolled: 1-line block ×3, first 2 shown]
	v_fma_f64 v[20:21], v[26:27], s[20:21], -v[20:21]
	v_fma_f64 v[22:23], v[108:109], s[0:1], v[22:23]
	v_add_f64 v[114:115], v[110:111], -v[112:113]
	v_fma_f64 v[20:21], v[108:109], s[0:1], v[20:21]
	v_add_f64 v[26:27], v[22:23], v[2:3]
	v_add_f64 v[2:3], v[2:3], -v[22:23]
	v_add_f64 v[22:23], v[122:123], -v[118:119]
	ds_write2_b64 v233, v[102:103], v[114:115] offset0:174 offset1:223
	v_add_f64 v[24:25], v[0:1], -v[20:21]
	v_add_f64 v[0:1], v[20:21], v[0:1]
	v_add_f64 v[20:21], v[84:85], v[186:187]
	ds_write2_b64 v162, v[24:25], v[26:27] offset0:16 offset1:65
	ds_write2_b64 v162, v[2:3], v[0:1] offset0:114 offset1:163
	v_add_f64 v[0:1], v[94:95], v[226:227]
	v_add_f64 v[2:3], v[88:89], v[86:87]
	v_add_f64 v[24:25], v[116:117], -v[100:101]
	v_add_f64 v[26:27], v[224:225], -v[212:213]
	;; [unrolled: 1-line block ×3, first 2 shown]
	v_add_f64 v[36:37], v[2:3], v[0:1]
	v_add_f64 v[104:105], v[24:25], -v[22:23]
	v_add_f64 v[106:107], v[24:25], v[22:23]
	v_add_f64 v[22:23], v[22:23], -v[26:27]
	v_add_f64 v[24:25], v[26:27], -v[24:25]
	;; [unrolled: 1-line block ×3, first 2 shown]
	v_mul_f64 v[102:103], v[102:103], s[2:3]
	v_add_f64 v[36:37], v[20:21], v[36:37]
	v_add_f64 v[20:21], v[20:21], -v[2:3]
	v_mul_f64 v[104:105], v[104:105], s[8:9]
	v_add_f64 v[106:107], v[106:107], v[26:27]
	v_add_f64 v[38:39], v[160:161], v[36:37]
	v_fma_f64 v[108:109], v[20:21], s[14:15], v[102:103]
	v_mul_f64 v[2:3], v[20:21], s[14:15]
	v_fma_f64 v[20:21], v[22:23], s[16:17], -v[104:105]
	v_mul_f64 v[22:23], v[22:23], s[16:17]
	v_fma_f64 v[114:115], v[24:25], s[6:7], v[104:105]
	v_fma_f64 v[36:37], v[36:37], s[4:5], v[38:39]
	v_fma_f64 v[2:3], v[0:1], s[18:19], -v[2:3]
	v_fma_f64 v[0:1], v[0:1], s[22:23], -v[102:103]
	v_fma_f64 v[22:23], v[24:25], s[20:21], -v[22:23]
	v_fma_f64 v[20:21], v[106:107], s[0:1], v[20:21]
	v_fma_f64 v[114:115], v[106:107], s[0:1], v[114:115]
	v_add_f64 v[108:109], v[108:109], v[36:37]
	v_add_f64 v[2:3], v[2:3], v[36:37]
	;; [unrolled: 1-line block ×3, first 2 shown]
	v_fma_f64 v[22:23], v[106:107], s[0:1], v[22:23]
	v_add_f64 v[116:117], v[108:109], -v[114:115]
	v_add_f64 v[24:25], v[20:21], v[2:3]
	v_add_f64 v[2:3], v[2:3], -v[20:21]
	v_add_f64 v[26:27], v[0:1], -v[22:23]
	v_add_f64 v[0:1], v[22:23], v[0:1]
	v_add_f64 v[20:21], v[242:243], -v[90:91]
	v_add_f64 v[22:23], v[194:195], v[124:125]
	ds_write2_b64 v182, v[38:39], v[116:117] offset0:5 offset1:54
	ds_write2_b64 v182, v[26:27], v[24:25] offset0:103 offset1:152
	;; [unrolled: 1-line block ×3, first 2 shown]
	v_add_f64 v[0:1], v[75:76], v[73:74]
	v_add_f64 v[2:3], v[152:153], v[238:239]
	v_add_f64 v[24:25], v[96:97], -v[192:193]
	v_add_f64 v[26:27], v[126:127], -v[120:121]
	v_add_f64 v[36:37], v[2:3], v[0:1]
	v_add_f64 v[38:39], v[22:23], -v[2:3]
	v_add_f64 v[102:103], v[24:25], -v[20:21]
	;; [unrolled: 3-line block ×3, first 2 shown]
	v_add_f64 v[36:37], v[22:23], v[36:37]
	v_add_f64 v[22:23], v[0:1], -v[22:23]
	v_mul_f64 v[102:103], v[102:103], s[8:9]
	v_add_f64 v[0:1], v[2:3], -v[0:1]
	v_mul_f64 v[2:3], v[38:39], s[14:15]
	v_add_f64 v[104:105], v[104:105], v[26:27]
	v_add_f64 v[98:99], v[144:145], v[36:37]
	v_mul_f64 v[22:23], v[22:23], s[2:3]
	v_fma_f64 v[116:117], v[24:25], s[6:7], v[102:103]
	v_fma_f64 v[2:3], v[0:1], s[18:19], -v[2:3]
	v_fma_f64 v[36:37], v[36:37], s[4:5], v[98:99]
	v_fma_f64 v[106:107], v[38:39], s[14:15], v[22:23]
	v_fma_f64 v[0:1], v[0:1], s[22:23], -v[22:23]
	v_fma_f64 v[22:23], v[20:21], s[16:17], -v[102:103]
	v_mul_f64 v[20:21], v[20:21], s[16:17]
	v_fma_f64 v[116:117], v[104:105], s[0:1], v[116:117]
	v_add_f64 v[2:3], v[2:3], v[36:37]
	v_add_f64 v[106:107], v[106:107], v[36:37]
	;; [unrolled: 1-line block ×3, first 2 shown]
	v_fma_f64 v[22:23], v[104:105], s[0:1], v[22:23]
	v_fma_f64 v[20:21], v[24:25], s[20:21], -v[20:21]
	v_add_f64 v[120:121], v[106:107], -v[116:117]
	v_add_f64 v[24:25], v[22:23], v[2:3]
	v_fma_f64 v[20:21], v[104:105], s[0:1], v[20:21]
	v_add_f64 v[2:3], v[2:3], -v[22:23]
	v_add_f64 v[22:23], v[206:207], -v[40:41]
	ds_write2_b64 v235, v[98:99], v[120:121] offset0:92 offset1:141
	v_add_f64 v[26:27], v[0:1], -v[20:21]
	v_add_f64 v[0:1], v[20:21], v[0:1]
	v_add_f64 v[20:21], v[69:70], -v[63:64]
	ds_write2_b64 v235, v[26:27], v[24:25] offset0:190 offset1:239
	ds_write2_b64 v236, v[2:3], v[0:1] offset0:32 offset1:81
	v_add_f64 v[0:1], v[16:17], v[244:245]
	v_add_f64 v[2:3], v[176:177], v[61:62]
	;; [unrolled: 1-line block ×3, first 2 shown]
	v_add_f64 v[26:27], v[240:241], -v[218:219]
	v_add_f64 v[102:103], v[22:23], -v[20:21]
	v_add_f64 v[100:101], v[22:23], v[20:21]
	v_add_f64 v[36:37], v[2:3], v[0:1]
	v_add_f64 v[98:99], v[0:1], -v[24:25]
	v_add_f64 v[0:1], v[2:3], -v[0:1]
	;; [unrolled: 1-line block ×3, first 2 shown]
	v_mul_f64 v[102:103], v[102:103], s[8:9]
	v_add_f64 v[100:101], v[100:101], v[26:27]
	v_add_f64 v[36:37], v[24:25], v[36:37]
	v_add_f64 v[24:25], v[24:25], -v[2:3]
	v_mul_f64 v[98:99], v[98:99], s[2:3]
	v_add_f64 v[2:3], v[20:21], -v[26:27]
	v_fma_f64 v[118:119], v[22:23], s[6:7], v[102:103]
	v_add_f64 v[38:39], v[146:147], v[36:37]
	v_mul_f64 v[20:21], v[24:25], s[14:15]
	v_fma_f64 v[104:105], v[24:25], s[14:15], v[98:99]
	v_mul_f64 v[24:25], v[2:3], s[16:17]
	v_fma_f64 v[2:3], v[2:3], s[16:17], -v[102:103]
	v_fma_f64 v[118:119], v[100:101], s[0:1], v[118:119]
	v_fma_f64 v[36:37], v[36:37], s[4:5], v[38:39]
	v_fma_f64 v[20:21], v[0:1], s[18:19], -v[20:21]
	v_fma_f64 v[0:1], v[0:1], s[22:23], -v[98:99]
	;; [unrolled: 1-line block ×3, first 2 shown]
	v_fma_f64 v[2:3], v[100:101], s[0:1], v[2:3]
	v_add_f64 v[104:105], v[104:105], v[36:37]
	v_add_f64 v[20:21], v[20:21], v[36:37]
	;; [unrolled: 1-line block ×3, first 2 shown]
	v_fma_f64 v[22:23], v[100:101], s[0:1], v[22:23]
	v_add_f64 v[120:121], v[104:105], -v[118:119]
	v_add_f64 v[26:27], v[2:3], v[20:21]
	v_add_f64 v[2:3], v[20:21], -v[2:3]
	v_add_f64 v[24:25], v[0:1], -v[22:23]
	v_add_f64 v[0:1], v[22:23], v[0:1]
	v_add_f64 v[22:23], v[82:83], v[128:129]
	v_add_f64 v[20:21], v[220:221], -v[34:35]
	ds_write2_b64 v248, v[38:39], v[120:121] offset0:179 offset1:228
	ds_write2_b64 v251, v[24:25], v[26:27] offset0:21 offset1:70
	;; [unrolled: 1-line block ×3, first 2 shown]
	v_add_f64 v[0:1], v[174:175], v[254:255]
	v_add_f64 v[2:3], v[228:229], v[184:185]
	v_add_f64 v[24:25], v[92:93], -v[67:68]
	v_add_f64 v[26:27], v[172:173], -v[65:66]
	;; [unrolled: 1-line block ×3, first 2 shown]
	v_add_f64 v[36:37], v[2:3], v[0:1]
	v_add_f64 v[98:99], v[24:25], -v[20:21]
	v_add_f64 v[100:101], v[24:25], v[20:21]
	v_add_f64 v[20:21], v[20:21], -v[26:27]
	v_add_f64 v[24:25], v[26:27], -v[24:25]
	;; [unrolled: 1-line block ×3, first 2 shown]
	v_mul_f64 v[76:77], v[76:77], s[2:3]
	v_add_f64 v[36:37], v[22:23], v[36:37]
	v_add_f64 v[22:23], v[22:23], -v[2:3]
	v_mul_f64 v[98:99], v[98:99], s[8:9]
	v_add_f64 v[100:101], v[100:101], v[26:27]
	v_add_f64 v[38:39], v[142:143], v[36:37]
	v_fma_f64 v[102:103], v[22:23], s[14:15], v[76:77]
	v_mul_f64 v[2:3], v[22:23], s[14:15]
	v_mul_f64 v[22:23], v[20:21], s[16:17]
	v_fma_f64 v[20:21], v[20:21], s[16:17], -v[98:99]
	v_fma_f64 v[120:121], v[24:25], s[6:7], v[98:99]
	v_fma_f64 v[36:37], v[36:37], s[4:5], v[38:39]
	v_fma_f64 v[2:3], v[0:1], s[18:19], -v[2:3]
	v_fma_f64 v[0:1], v[0:1], s[22:23], -v[76:77]
	;; [unrolled: 1-line block ×3, first 2 shown]
	v_fma_f64 v[20:21], v[100:101], s[0:1], v[20:21]
	v_fma_f64 v[120:121], v[100:101], s[0:1], v[120:121]
	v_add_f64 v[102:103], v[102:103], v[36:37]
	v_add_f64 v[2:3], v[2:3], v[36:37]
	;; [unrolled: 1-line block ×3, first 2 shown]
	v_fma_f64 v[22:23], v[100:101], s[0:1], v[22:23]
	v_add_f64 v[122:123], v[102:103], -v[120:121]
	v_add_f64 v[26:27], v[20:21], v[2:3]
	v_add_f64 v[2:3], v[2:3], -v[20:21]
	v_add_f64 v[24:25], v[0:1], -v[22:23]
	v_add_f64 v[0:1], v[22:23], v[0:1]
	ds_write2_b64 v250, v[38:39], v[122:123] offset0:10 offset1:59
	ds_write2_b64 v250, v[24:25], v[26:27] offset0:108 offset1:157
	;; [unrolled: 1-line block ×3, first 2 shown]
	v_add_f64 v[0:1], v[112:113], v[110:111]
	ds_write_b64 v165, v[0:1] offset:7840
	v_add_f64 v[0:1], v[114:115], v[108:109]
	ds_write_b64 v183, v[0:1] offset:10584
	;; [unrolled: 2-line block ×5, first 2 shown]
	s_waitcnt lgkmcnt(0)
	s_barrier
	buffer_gl0_inv
	s_and_saveexec_b32 s26, vcc_lo
	s_cbranch_execz .LBB0_15
; %bb.14:
	buffer_load_dword v153, off, s[28:31], 0 ; 4-byte Folded Reload
	v_mov_b32_e32 v151, 0
	v_mov_b32_e32 v251, v169
	;; [unrolled: 1-line block ×8, first 2 shown]
	v_add_nc_u32_e32 v195, 0x3800, v152
	v_add_nc_u32_e32 v236, 0x4000, v152
	;; [unrolled: 1-line block ×6, first 2 shown]
	s_waitcnt vmcnt(0)
	v_mul_u32_u24_e32 v0, 6, v153
	v_mad_u32_u24 v150, v153, 6, 0xfffffeda
	v_lshlrev_b32_e32 v0, 4, v0
	v_lshlrev_b64 v[2:3], 4, v[150:151]
	v_mad_u32_u24 v150, v153, 6, 0xfffffdb4
	v_add_co_u32 v22, s26, s12, v0
	v_add_co_ci_u32_e64 v23, null, s13, 0, s26
	v_add_co_u32 v0, vcc_lo, 0x1000, v22
	v_add_co_ci_u32_e32 v1, vcc_lo, 0, v23, vcc_lo
	v_add_co_u32 v24, vcc_lo, s12, v2
	v_add_co_ci_u32_e32 v25, vcc_lo, s13, v3, vcc_lo
	global_load_dwordx4 v[98:101], v[0:1], off offset:1280
	v_add_co_u32 v2, vcc_lo, 0x1000, v24
	v_add_co_ci_u32_e32 v3, vcc_lo, 0, v25, vcc_lo
	v_add_co_u32 v20, vcc_lo, 0x1500, v22
	s_clause 0x2
	global_load_dwordx4 v[106:109], v[2:3], off offset:1280
	global_load_dwordx4 v[102:105], v[0:1], off offset:1344
	;; [unrolled: 1-line block ×3, first 2 shown]
	v_add_co_ci_u32_e32 v21, vcc_lo, 0, v23, vcc_lo
	v_add_co_u32 v0, vcc_lo, 0x1500, v24
	v_add_co_ci_u32_e32 v1, vcc_lo, 0, v25, vcc_lo
	global_load_dwordx4 v[114:117], v[20:21], off offset:32
	v_lshlrev_b64 v[2:3], 4, v[150:151]
	v_add_co_u32 v24, vcc_lo, 0x1540, v24
	global_load_dwordx4 v[110:113], v[0:1], off offset:32
	v_add_co_ci_u32_e32 v25, vcc_lo, 0, v25, vcc_lo
	v_add_co_u32 v26, vcc_lo, s12, v2
	v_add_co_ci_u32_e32 v27, vcc_lo, s13, v3, vcc_lo
	global_load_dwordx4 v[122:125], v[24:25], off offset:16
	v_add_co_u32 v2, vcc_lo, 0x1540, v26
	v_add_co_ci_u32_e32 v3, vcc_lo, 0, v27, vcc_lo
	v_add_co_u32 v24, vcc_lo, 0x1500, v26
	v_add_co_ci_u32_e32 v25, vcc_lo, 0, v27, vcc_lo
	s_clause 0x1
	global_load_dwordx4 v[130:133], v[2:3], off offset:16
	global_load_dwordx4 v[126:129], v[0:1], off offset:16
	v_mad_u32_u24 v150, v153, 6, 0xfffffc8e
	v_add_co_u32 v26, vcc_lo, 0x1000, v26
	s_clause 0x1
	global_load_dwordx4 v[146:149], v[24:25], off offset:16
	global_load_dwordx4 v[142:145], v[0:1], off offset:48
	v_add_co_ci_u32_e32 v27, vcc_lo, 0, v27, vcc_lo
	v_lshlrev_b64 v[2:3], 4, v[150:151]
	global_load_dwordx4 v[138:141], v[24:25], off offset:48
	v_mad_u32_u24 v150, v153, 6, 0xfffffb68
	global_load_dwordx4 v[134:137], v[26:27], off offset:1280
	v_add_co_u32 v76, vcc_lo, s12, v2
	v_add_co_ci_u32_e32 v77, vcc_lo, s13, v3, vcc_lo
	v_lshlrev_b64 v[38:39], 4, v[150:151]
	v_add_co_u32 v36, vcc_lo, 0x1000, v76
	v_add_co_ci_u32_e32 v37, vcc_lo, 0, v77, vcc_lo
	v_mad_u32_u24 v150, v153, 6, 0xfffffa42
	s_clause 0x2
	global_load_dwordx4 v[0:3], v[36:37], off offset:1280
	global_load_dwordx4 v[154:157], v[26:27], off offset:1344
	;; [unrolled: 1-line block ×3, first 2 shown]
	v_add_co_u32 v24, vcc_lo, 0x1500, v76
	v_add_co_ci_u32_e32 v25, vcc_lo, 0, v77, vcc_lo
	global_load_dwordx4 v[163:166], v[36:37], off offset:1344
	v_add_co_u32 v26, vcc_lo, 0x1540, v76
	global_load_dwordx4 v[167:170], v[24:25], off offset:32
	v_add_co_ci_u32_e32 v27, vcc_lo, 0, v77, vcc_lo
	v_add_co_u32 v38, vcc_lo, s12, v38
	v_add_co_ci_u32_e32 v39, vcc_lo, s13, v39, vcc_lo
	v_add_co_u32 v36, vcc_lo, 0x1540, v38
	;; [unrolled: 2-line block ×3, first 2 shown]
	v_add_co_ci_u32_e32 v23, vcc_lo, 0, v23, vcc_lo
	s_clause 0x1
	global_load_dwordx4 v[171:174], v[26:27], off offset:16
	global_load_dwordx4 v[175:178], v[36:37], off offset:16
	v_add_co_u32 v26, vcc_lo, 0x1000, v38
	v_add_co_ci_u32_e32 v27, vcc_lo, 0, v39, vcc_lo
	v_add_co_u32 v36, vcc_lo, 0x1500, v38
	v_add_co_ci_u32_e32 v37, vcc_lo, 0, v39, vcc_lo
	ds_read2_b64 v[183:186], v46 offset0:76 offset1:125
	s_clause 0x8
	global_load_dwordx4 v[187:190], v[22:23], off offset:16
	global_load_dwordx4 v[191:194], v[20:21], off offset:48
	global_load_dwordx4 v[204:207], v[20:21], off offset:16
	global_load_dwordx4 v[208:211], v[24:25], off offset:16
	global_load_dwordx4 v[212:215], v[24:25], off offset:48
	global_load_dwordx4 v[216:219], v[26:27], off offset:1280
	global_load_dwordx4 v[220:223], v[36:37], off offset:48
	global_load_dwordx4 v[224:227], v[36:37], off offset:16
	global_load_dwordx4 v[228:231], v[26:27], off offset:1344
	buffer_load_dword v68, off, s[28:31], 0 offset:384 ; 4-byte Folded Reload
	v_lshlrev_b64 v[20:21], 4, v[150:151]
	ds_read2_b64 v[82:85], v232 offset0:106 offset1:155
	v_add_co_u32 v150, vcc_lo, s12, v20
	v_add_co_ci_u32_e32 v153, vcc_lo, s13, v21, vcc_lo
	v_add_co_u32 v20, vcc_lo, 0x1000, v150
	v_add_co_ci_u32_e32 v21, vcc_lo, 0, v153, vcc_lo
	s_waitcnt vmcnt(29) lgkmcnt(1)
	v_mul_f64 v[22:23], v[100:101], v[185:186]
	v_mul_f64 v[24:25], v[98:99], v[185:186]
	s_waitcnt vmcnt(28)
	v_mul_f64 v[38:39], v[106:107], v[183:184]
	v_fma_f64 v[26:27], v[14:15], v[98:99], -v[22:23]
	v_mul_f64 v[22:23], v[108:109], v[183:184]
	v_fma_f64 v[24:25], v[14:15], v[100:101], v[24:25]
	s_clause 0x1
	global_load_dwordx4 v[96:99], v[20:21], off offset:1280
	global_load_dwordx4 v[183:186], v[20:21], off offset:1344
	v_fma_f64 v[38:39], v[12:13], v[108:109], v[38:39]
	v_fma_f64 v[100:101], v[12:13], v[106:107], -v[22:23]
	ds_read2_b64 v[20:23], v195 offset0:168 offset1:217
	s_waitcnt vmcnt(29) lgkmcnt(0)
	v_mul_f64 v[76:77], v[104:105], v[22:23]
	v_mul_f64 v[22:23], v[102:103], v[22:23]
	v_fma_f64 v[102:103], v[57:58], v[102:103], -v[76:77]
	v_fma_f64 v[104:105], v[57:58], v[104:105], v[22:23]
	v_add_nc_u32_e32 v22, 0x2400, v152
	ds_read2_b64 v[92:95], v22 offset0:122 offset1:171
	s_waitcnt vmcnt(28)
	v_mul_f64 v[22:23], v[120:121], v[20:21]
	v_mul_f64 v[20:21], v[118:119], v[20:21]
	s_waitcnt vmcnt(27) lgkmcnt(0)
	v_mul_f64 v[90:91], v[114:115], v[94:95]
	v_mul_f64 v[76:77], v[116:117], v[94:95]
	s_waitcnt vmcnt(26)
	v_mul_f64 v[94:95], v[112:113], v[92:93]
	v_fma_f64 v[106:107], v[55:56], v[118:119], -v[22:23]
	v_fma_f64 v[108:109], v[55:56], v[120:121], v[20:21]
	ds_read2_b64 v[20:23], v236 offset0:206 offset1:255
	v_mul_f64 v[92:93], v[110:111], v[92:93]
	v_add_co_u32 v56, vcc_lo, 0x1500, v150
	v_add_co_ci_u32_e32 v57, vcc_lo, 0, v153, vcc_lo
	v_fma_f64 v[116:117], v[53:54], v[116:117], v[90:91]
	ds_read2_b64 v[88:91], v162 offset0:114 offset1:163
	v_fma_f64 v[114:115], v[53:54], v[114:115], -v[76:77]
	s_waitcnt vmcnt(25) lgkmcnt(1)
	v_mul_f64 v[86:87], v[122:123], v[22:23]
	v_mul_f64 v[76:77], v[124:125], v[22:23]
	v_fma_f64 v[94:95], v[51:52], v[110:111], -v[94:95]
	v_fma_f64 v[92:93], v[51:52], v[112:113], v[92:93]
	s_waitcnt vmcnt(24)
	v_mul_f64 v[110:111], v[132:133], v[20:21]
	v_mul_f64 v[112:113], v[130:131], v[20:21]
	ds_read2_b64 v[20:23], v197 offset0:32 offset1:81
	s_waitcnt vmcnt(22) lgkmcnt(1)
	v_mul_f64 v[120:121], v[146:147], v[88:89]
	v_mul_f64 v[118:119], v[128:129], v[90:91]
	v_fma_f64 v[181:182], v[44:45], v[124:125], v[86:87]
	v_fma_f64 v[179:180], v[44:45], v[122:123], -v[76:77]
	v_mul_f64 v[76:77], v[126:127], v[90:91]
	v_mul_f64 v[90:91], v[148:149], v[88:89]
	s_waitcnt vmcnt(21) lgkmcnt(0)
	v_mul_f64 v[124:125], v[142:143], v[22:23]
	v_fma_f64 v[110:111], v[42:43], v[130:131], -v[110:111]
	v_fma_f64 v[112:113], v[42:43], v[132:133], v[112:113]
	v_mul_f64 v[122:123], v[144:145], v[22:23]
	s_waitcnt vmcnt(20)
	v_mul_f64 v[130:131], v[140:141], v[20:21]
	v_mul_f64 v[132:133], v[138:139], v[20:21]
	ds_read2_b64 v[20:23], v195 offset0:70 offset1:119
	ds_read2_b64 v[86:89], v18 offset0:152 offset1:201
	v_fma_f64 v[195:196], v[78:79], v[148:149], v[120:121]
	s_waitcnt vmcnt(19)
	v_mul_f64 v[120:121], v[136:137], v[84:85]
	v_mul_f64 v[84:85], v[134:135], v[84:85]
	v_fma_f64 v[118:119], v[80:81], v[126:127], -v[118:119]
	v_fma_f64 v[80:81], v[80:81], v[128:129], v[76:77]
	v_fma_f64 v[90:91], v[78:79], v[146:147], -v[90:91]
	v_fma_f64 v[232:233], v[49:50], v[144:145], v[124:125]
	s_waitcnt vmcnt(18)
	v_mul_f64 v[146:147], v[2:3], v[82:83]
	v_mul_f64 v[82:83], v[0:1], v[82:83]
	ds_read2_b64 v[76:79], v236 offset0:108 offset1:157
	s_waitcnt vmcnt(15) lgkmcnt(2)
	v_mul_f64 v[124:125], v[165:166], v[20:21]
	v_mul_f64 v[20:21], v[163:164], v[20:21]
	v_fma_f64 v[238:239], v[47:48], v[138:139], -v[130:131]
	v_mul_f64 v[72:73], v[156:157], v[22:23]
	v_mul_f64 v[74:75], v[154:155], v[22:23]
	s_waitcnt lgkmcnt(1)
	v_mul_f64 v[138:139], v[160:161], v[88:89]
	v_mul_f64 v[88:89], v[158:159], v[88:89]
	v_add_nc_u32_e32 v22, 0x1c00, v152
	v_fma_f64 v[202:203], v[49:50], v[142:143], -v[122:123]
	ds_read_b64 v[122:123], v19 offset:18816
	v_fma_f64 v[240:241], v[47:48], v[140:141], v[132:133]
	v_fma_f64 v[242:243], v[32:33], v[134:135], -v[120:121]
	s_waitcnt vmcnt(14)
	v_mul_f64 v[120:121], v[169:170], v[86:87]
	v_mul_f64 v[86:87], v[167:168], v[86:87]
	ds_read2_b64 v[130:133], v197 offset0:130 offset1:179
	v_fma_f64 v[84:85], v[32:33], v[136:137], v[84:85]
	ds_read2_b64 v[126:129], v22 offset0:84 offset1:133
	s_waitcnt vmcnt(2)
	v_add_co_u32 v197, s12, s12, v68
	v_fma_f64 v[146:147], v[30:31], v[0:1], -v[146:147]
	v_fma_f64 v[22:23], v[30:31], v[2:3], v[82:83]
	s_waitcnt lgkmcnt(3)
	v_mul_f64 v[134:135], v[177:178], v[76:77]
	v_mul_f64 v[136:137], v[175:176], v[76:77]
	v_fma_f64 v[148:149], v[8:9], v[165:166], v[20:21]
	v_add_nc_u32_e32 v20, 0x3400, v152
	ds_read2_b64 v[0:3], v162 offset0:16 offset1:65
	v_fma_f64 v[244:245], v[10:11], v[154:155], -v[72:73]
	v_fma_f64 v[246:247], v[10:11], v[156:157], v[74:75]
	ds_read2_b64 v[66:69], v254 offset0:190 offset1:239
	ds_read2_b64 v[70:73], v237 offset0:136 offset1:185
	;; [unrolled: 1-line block ×3, first 2 shown]
	v_fma_f64 v[64:65], v[6:7], v[158:159], -v[138:139]
	v_fma_f64 v[62:63], v[6:7], v[160:161], v[88:89]
	global_load_dwordx4 v[138:141], v[36:37], off offset:32
	v_fma_f64 v[142:143], v[4:5], v[167:168], -v[120:121]
	v_fma_f64 v[156:157], v[4:5], v[169:170], v[86:87]
	s_clause 0x3
	buffer_load_dword v4, off, s[28:31], 0 offset:488
	buffer_load_dword v5, off, s[28:31], 0 offset:492
	;; [unrolled: 1-line block ×4, first 2 shown]
	v_fma_f64 v[154:155], v[8:9], v[163:164], -v[124:125]
	s_waitcnt lgkmcnt(6)
	v_mul_f64 v[36:37], v[189:190], v[122:123]
	v_mul_f64 v[88:89], v[187:188], v[122:123]
	s_waitcnt lgkmcnt(5)
	v_mul_f64 v[60:61], v[193:194], v[130:131]
	v_mul_f64 v[122:123], v[191:192], v[130:131]
	;; [unrolled: 1-line block ×4, first 2 shown]
	s_waitcnt lgkmcnt(4)
	v_mul_f64 v[86:87], v[206:207], v[126:127]
	v_mul_f64 v[120:121], v[204:205], v[126:127]
	s_waitcnt lgkmcnt(3)
	v_mul_f64 v[58:59], v[210:211], v[2:3]
	v_mul_f64 v[2:3], v[208:209], v[2:3]
	;; [unrolled: 1-line block ×4, first 2 shown]
	s_waitcnt lgkmcnt(1)
	v_mul_f64 v[162:163], v[218:219], v[72:73]
	v_mul_f64 v[72:73], v[216:217], v[72:73]
	v_add_co_ci_u32_e64 v234, null, s13, 0, s12
	s_waitcnt vmcnt(6)
	v_mul_f64 v[169:170], v[98:99], v[70:71]
	v_mul_f64 v[70:71], v[96:97], v[70:71]
	s_waitcnt vmcnt(2)
	v_fma_f64 v[130:131], v[4:5], v[175:176], -v[134:135]
	v_fma_f64 v[20:21], v[4:5], v[177:178], v[136:137]
	global_load_dwordx4 v[134:137], v[56:57], off offset:48
	s_clause 0x1
	buffer_load_dword v124, off, s[28:31], 0 offset:64
	buffer_load_dword v125, off, s[28:31], 0 offset:68
	s_waitcnt vmcnt(3)
	v_fma_f64 v[158:159], v[6:7], v[171:172], -v[82:83]
	v_fma_f64 v[144:145], v[6:7], v[173:174], v[78:79]
	v_add_co_u32 v78, vcc_lo, 0x1540, v150
	v_add_co_ci_u32_e32 v79, vcc_lo, 0, v153, vcc_lo
	v_mul_f64 v[82:83], v[214:215], v[68:69]
	v_add_co_u32 v54, vcc_lo, 0x1540, v197
	v_add_co_ci_u32_e32 v55, vcc_lo, 0, v234, vcc_lo
	v_mul_f64 v[68:69], v[212:213], v[68:69]
	s_waitcnt lgkmcnt(0)
	v_mul_f64 v[171:172], v[185:186], v[74:75]
	v_mul_f64 v[74:75], v[183:184], v[74:75]
	v_add_f64 v[34:35], v[146:147], -v[158:159]
	v_add_f64 v[146:147], v[146:147], v[158:159]
	s_waitcnt vmcnt(0)
	v_fma_f64 v[36:37], v[124:125], v[187:188], -v[36:37]
	v_fma_f64 v[88:89], v[124:125], v[189:190], v[88:89]
	global_load_dwordx4 v[124:127], v[56:57], off offset:32
	s_clause 0xb
	buffer_load_dword v16, off, s[28:31], 0 offset:128
	buffer_load_dword v17, off, s[28:31], 0 offset:132
	;; [unrolled: 1-line block ×12, first 2 shown]
	v_add_f64 v[48:49], v[24:25], v[88:89]
	v_add_f64 v[24:25], v[24:25], -v[88:89]
	v_add_f64 v[88:89], v[238:239], -v[64:65]
	v_add_f64 v[64:65], v[238:239], v[64:65]
	s_waitcnt vmcnt(6)
	v_fma_f64 v[4:5], v[6:7], v[206:207], v[120:121]
	s_waitcnt vmcnt(2)
	v_fma_f64 v[60:61], v[12:13], v[191:192], -v[60:61]
	v_fma_f64 v[12:13], v[12:13], v[193:194], v[122:123]
	global_load_dwordx4 v[120:123], v[78:79], off offset:16
	s_clause 0x3
	buffer_load_dword v40, off, s[28:31], 0 offset:472
	buffer_load_dword v41, off, s[28:31], 0 offset:476
	buffer_load_dword v42, off, s[28:31], 0 offset:480
	buffer_load_dword v43, off, s[28:31], 0 offset:484
	v_fma_f64 v[86:87], v[6:7], v[204:205], -v[86:87]
	v_fma_f64 v[206:207], v[250:251], v[212:213], -v[82:83]
	v_mul_f64 v[78:79], v[222:223], v[66:67]
	v_mul_f64 v[66:67], v[220:221], v[66:67]
	v_add_f64 v[82:83], v[232:233], -v[92:93]
	v_add_f64 v[44:45], v[60:61], -v[114:115]
	v_add_f64 v[52:53], v[12:13], v[116:117]
	v_add_f64 v[12:13], v[12:13], -v[116:117]
	v_add_f64 v[46:47], v[86:87], -v[102:103]
	v_fma_f64 v[222:223], v[248:249], v[222:223], v[66:67]
	v_add_f64 v[66:67], v[118:119], -v[106:107]
	s_waitcnt vmcnt(0)
	v_fma_f64 v[204:205], v[42:43], v[210:211], v[2:3]
	ds_read2_b64 v[0:3], v152 offset0:196 offset1:245
	s_clause 0x3
	buffer_load_dword v28, off, s[28:31], 0 offset:440
	buffer_load_dword v29, off, s[28:31], 0 offset:444
	;; [unrolled: 1-line block ×4, first 2 shown]
	v_fma_f64 v[160:161], v[42:43], v[208:209], -v[58:59]
	v_mul_f64 v[58:59], v[230:231], v[76:77]
	v_mul_f64 v[76:77], v[228:229], v[76:77]
	v_fma_f64 v[208:209], v[250:251], v[214:215], v[68:69]
	v_fma_f64 v[214:215], v[248:249], v[220:221], -v[78:79]
	v_add_f64 v[68:69], v[38:39], v[181:182]
	v_add_f64 v[78:79], v[202:203], v[94:95]
	v_add_f64 v[38:39], v[38:39], -v[181:182]
	v_add_co_u32 v42, vcc_lo, 0x1000, v197
	v_add_co_ci_u32_e32 v43, vcc_lo, 0, v234, vcc_lo
	v_add_f64 v[158:159], v[160:161], v[154:155]
	v_add_f64 v[154:155], v[160:161], -v[154:155]
	v_add_f64 v[160:161], v[206:207], -v[142:143]
	v_add_f64 v[142:143], v[206:207], v[142:143]
	s_waitcnt vmcnt(0)
	v_fma_f64 v[210:211], v[30:31], v[216:217], -v[162:163]
	v_fma_f64 v[212:213], v[30:31], v[218:219], v[72:73]
	global_load_dwordx4 v[163:166], v[54:55], off offset:16
	s_clause 0x3
	buffer_load_dword v30, off, s[28:31], 0 offset:456
	buffer_load_dword v31, off, s[28:31], 0 offset:460
	;; [unrolled: 1-line block ×4, first 2 shown]
	v_fma_f64 v[216:217], v[40:41], v[224:225], -v[50:51]
	v_fma_f64 v[224:225], v[40:41], v[226:227], v[167:168]
	v_add_f64 v[40:41], v[26:27], -v[36:37]
	v_add_f64 v[50:51], v[4:5], v[104:105]
	v_fma_f64 v[226:227], v[28:29], v[96:97], -v[169:170]
	v_fma_f64 v[248:249], v[28:29], v[98:99], v[70:71]
	v_add_f64 v[26:27], v[26:27], v[36:37]
	v_add_f64 v[36:37], v[86:87], v[102:103]
	;; [unrolled: 1-line block ×3, first 2 shown]
	v_add_f64 v[4:5], v[4:5], -v[104:105]
	v_add_f64 v[60:61], v[202:203], -v[94:95]
	v_add_f64 v[70:71], v[80:81], v[108:109]
	v_add_f64 v[72:73], v[232:233], v[92:93]
	v_add_f64 v[80:81], v[80:81], -v[108:109]
	v_add_f64 v[86:87], v[242:243], -v[110:111]
	;; [unrolled: 1-line block ×3, first 2 shown]
	v_add_f64 v[94:95], v[84:85], v[112:113]
	v_add_f64 v[96:97], v[195:196], v[246:247]
	v_add_f64 v[98:99], v[240:241], v[62:63]
	v_add_f64 v[62:63], v[240:241], -v[62:63]
	v_add_f64 v[102:103], v[195:196], -v[246:247]
	v_add_f64 v[90:91], v[90:91], v[244:245]
	v_add_f64 v[84:85], v[84:85], -v[112:113]
	v_add_f64 v[167:168], v[24:25], -v[12:13]
	;; [unrolled: 1-line block ×3, first 2 shown]
	v_add_f64 v[108:109], v[48:49], v[50:51]
	v_add_f64 v[112:113], v[52:53], -v[50:51]
	v_add_f64 v[114:115], v[26:27], v[36:37]
	v_add_f64 v[116:117], v[26:27], -v[54:55]
	v_add_f64 v[169:170], v[12:13], -v[4:5]
	v_add_f64 v[12:13], v[12:13], v[4:5]
	v_add_f64 v[187:188], v[70:71], -v[68:69]
	v_add_f64 v[175:176], v[72:73], -v[70:71]
	;; [unrolled: 1-line block ×6, first 2 shown]
	v_mul_f64 v[112:113], v[112:113], s[14:15]
	v_mul_f64 v[169:170], v[169:170], s[8:9]
	v_add_f64 v[12:13], v[24:25], v[12:13]
	v_mul_f64 v[175:176], v[175:176], s[14:15]
	v_mul_f64 v[191:192], v[4:5], s[16:17]
	v_fma_f64 v[4:5], v[4:5], s[16:17], -v[169:170]
	v_fma_f64 v[195:196], v[187:188], s[18:19], -v[175:176]
	v_fma_f64 v[4:5], v[12:13], s[0:1], v[4:5]
	s_waitcnt vmcnt(0)
	v_fma_f64 v[220:221], v[32:33], v[230:231], v[76:77]
	v_fma_f64 v[230:231], v[30:31], v[185:186], v[74:75]
	v_add_f64 v[74:75], v[100:101], v[179:180]
	v_add_f64 v[76:77], v[118:119], v[106:107]
	v_add_f64 v[106:107], v[44:45], -v[46:47]
	v_add_f64 v[44:45], v[44:45], v[46:47]
	v_fma_f64 v[218:219], v[32:33], v[228:229], -v[58:59]
	v_fma_f64 v[228:229], v[30:31], v[183:184], -v[171:172]
	v_add_f64 v[58:59], v[100:101], -v[179:180]
	v_add_f64 v[100:101], v[242:243], v[110:111]
	v_add_f64 v[110:111], v[48:49], -v[52:53]
	v_add_f64 v[46:47], v[46:47], -v[40:41]
	v_add_f64 v[171:172], v[68:69], v[70:71]
	v_add_f64 v[183:184], v[38:39], -v[82:83]
	v_add_f64 v[185:186], v[94:95], v[96:97]
	v_add_f64 v[70:71], v[82:83], v[80:81]
	;; [unrolled: 1-line block ×3, first 2 shown]
	v_add_f64 v[118:119], v[54:55], -v[36:37]
	v_add_f64 v[48:49], v[50:51], -v[48:49]
	;; [unrolled: 1-line block ×4, first 2 shown]
	v_add_f64 v[177:178], v[74:75], v[76:77]
	v_add_f64 v[181:182], v[78:79], -v[76:77]
	v_add_f64 v[74:75], v[76:77], -v[74:75]
	;; [unrolled: 1-line block ×3, first 2 shown]
	v_add_f64 v[40:41], v[40:41], v[44:45]
	v_add_f64 v[44:45], v[86:87], -v[88:89]
	v_add_f64 v[80:81], v[52:53], v[108:109]
	v_add_f64 v[52:53], v[88:89], -v[92:93]
	v_add_f64 v[88:89], v[62:63], v[102:103]
	v_add_f64 v[68:69], v[100:101], v[90:91]
	;; [unrolled: 1-line block ×3, first 2 shown]
	v_add_f64 v[54:55], v[94:95], -v[98:99]
	v_add_f64 v[94:95], v[96:97], -v[94:95]
	v_add_f64 v[96:97], v[98:99], -v[96:97]
	v_add_f64 v[114:115], v[100:101], -v[64:65]
	v_add_f64 v[98:99], v[98:99], v[185:186]
	v_add_f64 v[100:101], v[90:91], -v[100:101]
	v_add_f64 v[185:186], v[84:85], -v[62:63]
	;; [unrolled: 1-line block ×4, first 2 shown]
	v_add_f64 v[72:73], v[72:73], v[171:172]
	v_mul_f64 v[171:172], v[110:111], s[2:3]
	v_add_f64 v[78:79], v[78:79], v[177:178]
	v_add_f64 v[177:178], v[64:65], -v[90:91]
	v_add_f64 v[92:93], v[92:93], -v[86:87]
	v_add_f64 v[82:83], v[86:87], v[82:83]
	v_mul_f64 v[86:87], v[173:174], s[2:3]
	v_fma_f64 v[110:111], v[110:111], s[2:3], v[112:113]
	v_add_f64 v[38:39], v[38:39], v[70:71]
	v_add_f64 v[36:37], v[58:59], -v[60:61]
	v_add_f64 v[84:85], v[84:85], v[88:89]
	s_clause 0x3
	buffer_load_dword v88, off, s[28:31], 0 offset:48
	buffer_load_dword v89, off, s[28:31], 0 offset:52
	;; [unrolled: 1-line block ×4, first 2 shown]
	v_add_f64 v[64:65], v[64:65], v[68:69]
	v_add_f64 v[60:61], v[60:61], v[66:67]
	v_add_f64 v[66:67], v[66:67], -v[58:59]
	v_mul_f64 v[24:25], v[46:47], s[16:17]
	v_mul_f64 v[106:107], v[106:107], s[8:9]
	;; [unrolled: 1-line block ×7, first 2 shown]
	s_waitcnt lgkmcnt(0)
	v_add_f64 v[70:71], v[2:3], v[72:73]
	v_fma_f64 v[193:194], v[48:49], s[22:23], -v[171:172]
	v_fma_f64 v[48:49], v[48:49], s[18:19], -v[112:113]
	v_mul_f64 v[112:113], v[181:182], s[14:15]
	v_fma_f64 v[181:182], v[167:168], s[20:21], -v[191:192]
	v_fma_f64 v[191:192], v[167:168], s[6:7], v[169:170]
	v_mul_f64 v[167:168], v[76:77], s[16:17]
	v_mul_f64 v[169:170], v[189:190], s[8:9]
	v_fma_f64 v[86:87], v[187:188], s[22:23], -v[86:87]
	v_fma_f64 v[189:190], v[173:174], s[2:3], v[175:176]
	v_mul_f64 v[171:172], v[54:55], s[2:3]
	v_mul_f64 v[173:174], v[177:178], s[14:15]
	v_add_f64 v[58:59], v[58:59], v[60:61]
	v_mul_f64 v[60:61], v[116:117], s[2:3]
	v_fma_f64 v[24:25], v[104:105], s[20:21], -v[24:25]
	v_fma_f64 v[104:105], v[104:105], s[6:7], v[106:107]
	v_fma_f64 v[46:47], v[46:47], s[16:17], -v[106:107]
	v_mul_f64 v[106:107], v[66:67], s[16:17]
	v_fma_f64 v[116:117], v[116:117], s[2:3], v[118:119]
	v_fma_f64 v[232:233], v[54:55], s[2:3], v[96:97]
	;; [unrolled: 1-line block ×3, first 2 shown]
	v_fma_f64 v[187:188], v[183:184], s[20:21], -v[167:168]
	v_fma_f64 v[183:184], v[183:184], s[6:7], v[169:170]
	v_fma_f64 v[76:77], v[76:77], s[16:17], -v[169:170]
	ds_read2_b64 v[167:170], v237 offset0:38 offset1:87
	v_fma_f64 v[238:239], v[94:95], s[22:23], -v[171:172]
	v_fma_f64 v[94:95], v[94:95], s[18:19], -v[96:97]
	v_mul_f64 v[96:97], v[102:103], s[16:17]
	v_fma_f64 v[102:103], v[102:103], s[16:17], -v[62:63]
	v_fma_f64 v[60:61], v[26:27], s[22:23], -v[60:61]
	;; [unrolled: 1-line block ×3, first 2 shown]
	v_mul_f64 v[118:119], v[179:180], s[2:3]
	v_fma_f64 v[24:25], v[40:41], s[0:1], v[24:25]
	v_fma_f64 v[106:107], v[36:37], s[20:21], -v[106:107]
	v_fma_f64 v[36:37], v[36:37], s[6:7], v[50:51]
	v_fma_f64 v[50:51], v[66:67], s[16:17], -v[50:51]
	v_mul_f64 v[66:67], v[92:93], s[16:17]
	v_fma_f64 v[92:93], v[92:93], s[16:17], -v[52:53]
	v_fma_f64 v[46:47], v[40:41], s[0:1], v[46:47]
	v_fma_f64 v[242:243], v[38:39], s[0:1], v[187:188]
	s_waitcnt lgkmcnt(0)
	v_add_f64 v[54:55], v[167:168], v[80:81]
	v_fma_f64 v[167:168], v[185:186], s[6:7], v[62:63]
	v_fma_f64 v[76:77], v[38:39], s[0:1], v[76:77]
	;; [unrolled: 1-line block ×3, first 2 shown]
	v_fma_f64 v[96:97], v[185:186], s[20:21], -v[96:97]
	v_fma_f64 v[118:119], v[74:75], s[22:23], -v[118:119]
	;; [unrolled: 1-line block ×3, first 2 shown]
	v_mul_f64 v[112:113], v[114:115], s[2:3]
	v_fma_f64 v[114:115], v[114:115], s[2:3], v[173:174]
	v_fma_f64 v[106:107], v[58:59], s[0:1], v[106:107]
	v_fma_f64 v[66:67], v[44:45], s[20:21], -v[66:67]
	v_fma_f64 v[44:45], v[44:45], s[6:7], v[52:53]
	v_fma_f64 v[167:168], v[84:85], s[0:1], v[167:168]
	v_fma_f64 v[112:113], v[100:101], s[22:23], -v[112:113]
	v_fma_f64 v[100:101], v[100:101], s[18:19], -v[173:174]
	v_fma_f64 v[246:247], v[82:83], s[0:1], v[66:67]
	v_fma_f64 v[244:245], v[82:83], s[0:1], v[44:45]
	s_waitcnt vmcnt(0)
	v_add_f64 v[68:69], v[90:91], v[78:79]
	v_add_f64 v[90:91], v[0:1], v[98:99]
	global_load_dwordx4 v[0:3], v[42:43], off offset:1280
	s_clause 0x3
	buffer_load_dword v250, off, s[28:31], 0 offset:32
	buffer_load_dword v251, off, s[28:31], 0 offset:36
	;; [unrolled: 1-line block ×4, first 2 shown]
	global_load_dwordx4 v[171:174], v[56:57], off offset:16
	ds_read2_b64 v[175:178], v235 offset0:54 offset1:103
	v_add_f64 v[88:89], v[88:89], v[64:65]
	v_fma_f64 v[98:99], v[98:99], s[4:5], v[90:91]
	v_fma_f64 v[64:65], v[64:65], s[4:5], v[88:89]
	s_waitcnt vmcnt(3)
	v_add_f64 v[52:53], v[250:251], v[108:109]
	v_fma_f64 v[250:251], v[82:83], s[0:1], v[92:93]
	v_fma_f64 v[62:63], v[108:109], s[4:5], v[52:53]
	;; [unrolled: 1-line block ×3, first 2 shown]
	global_load_dwordx4 v[179:182], v[42:43], off offset:1344
	v_fma_f64 v[56:57], v[80:81], s[4:5], v[54:55]
	v_fma_f64 v[80:81], v[40:41], s[0:1], v[104:105]
	;; [unrolled: 1-line block ×5, first 2 shown]
	v_add_co_u32 v191, vcc_lo, 0x1500, v197
	v_add_co_ci_u32_e32 v192, vcc_lo, 0, v234, vcc_lo
	v_fma_f64 v[234:235], v[58:59], s[0:1], v[36:37]
	v_fma_f64 v[78:79], v[58:59], s[0:1], v[50:51]
	v_add_f64 v[26:27], v[26:27], v[62:63]
	v_add_f64 v[60:61], v[60:61], v[62:63]
	;; [unrolled: 1-line block ×10, first 2 shown]
	s_clause 0x1
	global_load_dwordx4 v[183:186], v[191:192], off offset:32
	global_load_dwordx4 v[187:190], v[191:192], off offset:16
	v_add_f64 v[86:87], v[86:87], v[12:13]
	v_add_f64 v[12:13], v[195:196], v[12:13]
	;; [unrolled: 1-line block ×5, first 2 shown]
	v_add_f64 v[48:49], v[26:27], -v[4:5]
	v_fma_f64 v[26:27], v[84:85], s[0:1], v[102:103]
	v_add_f64 v[6:7], v[80:81], v[72:73]
	v_add_f64 v[4:5], v[110:111], -v[104:105]
	buffer_store_dword v4, off, s[28:31], 0 ; 4-byte Folded Spill
	buffer_store_dword v5, off, s[28:31], 0 offset:4 ; 4-byte Folded Spill
	buffer_store_dword v6, off, s[28:31], 0 offset:8 ; 4-byte Folded Spill
	;; [unrolled: 1-line block ×3, first 2 shown]
	v_add_f64 v[62:63], v[72:73], -v[80:81]
	v_add_f64 v[72:73], v[76:77], v[193:194]
	v_add_f64 v[80:81], v[193:194], -v[76:77]
	global_load_dwordx4 v[191:194], v[191:192], off offset:48
	s_clause 0x3
	buffer_load_dword v28, off, s[28:31], 0 offset:248
	buffer_load_dword v29, off, s[28:31], 0 offset:252
	;; [unrolled: 1-line block ×4, first 2 shown]
	v_add_f64 v[42:43], v[36:37], -v[46:47]
	v_add_f64 v[50:51], v[46:47], v[36:37]
	v_add_f64 v[46:47], v[24:25], v[58:59]
	v_add_f64 v[58:59], v[58:59], -v[24:25]
	v_add_f64 v[24:25], v[100:101], v[64:65]
	v_add_f64 v[74:75], v[12:13], -v[78:79]
	v_add_f64 v[82:83], v[78:79], v[12:13]
	s_waitcnt lgkmcnt(0)
	v_mul_f64 v[12:13], v[140:141], v[177:178]
	v_mul_f64 v[177:178], v[138:139], v[177:178]
	v_add_f64 v[44:45], v[60:61], -v[108:109]
	v_add_f64 v[56:57], v[108:109], v[60:61]
	v_add_f64 v[60:61], v[104:105], v[110:111]
	;; [unrolled: 1-line block ×4, first 2 shown]
	v_fma_f64 v[112:113], v[84:85], s[0:1], v[96:97]
	v_add_f64 v[66:67], v[234:235], v[116:117]
	v_add_f64 v[4:5], v[94:95], v[98:99]
	v_add_f64 v[76:77], v[118:119], -v[242:243]
	v_add_f64 v[84:85], v[242:243], v[118:119]
	v_add_f64 v[94:95], v[116:117], -v[234:235]
	v_add_f64 v[118:119], v[195:196], -v[244:245]
	v_add_f64 v[116:117], v[167:168], v[202:203]
	v_add_f64 v[64:65], v[92:93], -v[240:241]
	v_add_f64 v[92:93], v[240:241], v[92:93]
	v_add_f64 v[78:79], v[106:107], v[86:87]
	v_add_f64 v[86:87], v[86:87], -v[106:107]
	v_add_f64 v[104:105], v[26:27], v[24:25]
	v_add_f64 v[108:109], v[24:25], -v[26:27]
	v_mul_f64 v[24:25], v[126:127], v[175:176]
	v_mul_f64 v[26:27], v[124:125], v[175:176]
	v_add_f64 v[98:99], v[246:247], v[100:101]
	v_add_f64 v[114:115], v[100:101], -v[246:247]
	v_add_f64 v[96:97], v[102:103], -v[112:113]
	v_add_f64 v[112:113], v[112:113], v[102:103]
	v_add_f64 v[102:103], v[244:245], v[195:196]
	v_add_f64 v[100:101], v[202:203], -v[167:168]
	v_add_f64 v[106:107], v[4:5], -v[250:251]
	v_add_f64 v[110:111], v[250:251], v[4:5]
	v_add_f64 v[4:5], v[22:23], v[144:145]
	;; [unrolled: 1-line block ×3, first 2 shown]
	v_add_f64 v[148:149], v[204:205], -v[148:149]
	v_add_f64 v[204:205], v[146:147], v[158:159]
	v_add_f64 v[22:23], v[22:23], -v[144:145]
	v_add_f64 v[144:145], v[154:155], -v[34:35]
	s_waitcnt vmcnt(0)
	v_fma_f64 v[12:13], v[30:31], v[138:139], -v[12:13]
	v_fma_f64 v[175:176], v[30:31], v[140:141], v[177:178]
	ds_read2_b64 v[138:141], v236 offset0:10 offset1:59
	v_fma_f64 v[177:178], v[28:29], v[124:125], -v[24:25]
	v_fma_f64 v[26:27], v[28:29], v[126:127], v[26:27]
	s_clause 0x3
	buffer_load_dword v28, off, s[28:31], 0 offset:112
	buffer_load_dword v29, off, s[28:31], 0 offset:116
	;; [unrolled: 1-line block ×4, first 2 shown]
	v_add_f64 v[126:127], v[208:209], v[156:157]
	v_add_f64 v[156:157], v[208:209], -v[156:157]
	v_mad_u64_u32 v[207:208], null, s24, v200, 0
	v_add_f64 v[24:25], v[4:5], v[167:168]
	s_waitcnt lgkmcnt(0)
	v_mul_f64 v[195:196], v[165:166], v[138:139]
	v_mul_f64 v[202:203], v[163:164], v[138:139]
	v_mul_lo_u32 v138, s25, v200
	v_mul_lo_u32 v139, s24, v201
	v_mul_f64 v[32:33], v[122:123], v[140:141]
	v_mul_f64 v[124:125], v[120:121], v[140:141]
	v_add_f64 v[200:201], v[160:161], -v[154:155]
	v_add_f64 v[154:155], v[160:161], v[154:155]
	v_add_f64 v[238:239], v[214:215], v[12:13]
	v_add_f64 v[12:13], v[214:215], -v[12:13]
	v_add_f64 v[24:25], v[126:127], v[24:25]
	v_add3_u32 v208, v208, v139, v138
	ds_read2_b64 v[138:141], v152 offset0:98 offset1:147
	s_clause 0x3
	buffer_load_dword v240, off, s[28:31], 0 offset:16
	buffer_load_dword v241, off, s[28:31], 0 offset:20
	;; [unrolled: 1-line block ×4, first 2 shown]
	v_add_f64 v[214:215], v[216:217], -v[218:219]
	v_add_f64 v[236:237], v[222:223], v[175:176]
	v_add_f64 v[175:176], v[222:223], -v[175:176]
	v_mul_f64 v[200:201], v[200:201], s[8:9]
	v_add_f64 v[154:155], v[34:35], v[154:155]
	v_add_f64 v[222:223], v[12:13], v[214:215]
	s_waitcnt vmcnt(4)
	v_fma_f64 v[232:233], v[30:31], v[120:121], -v[32:33]
	v_fma_f64 v[234:235], v[30:31], v[122:123], v[124:125]
	v_add_f64 v[30:31], v[156:157], v[148:149]
	v_fma_f64 v[162:163], v[28:29], v[163:164], -v[195:196]
	v_fma_f64 v[164:165], v[28:29], v[165:166], v[202:203]
	v_add_f64 v[28:29], v[4:5], -v[126:127]
	v_add_f64 v[32:33], v[142:143], v[204:205]
	v_add_f64 v[120:121], v[126:127], -v[167:168]
	v_add_f64 v[122:123], v[34:35], -v[160:161]
	;; [unrolled: 1-line block ×5, first 2 shown]
	v_mul_f64 v[202:203], v[144:145], s[16:17]
	v_add_f64 v[148:149], v[148:149], -v[22:23]
	v_add_f64 v[34:35], v[22:23], -v[156:157]
	s_waitcnt lgkmcnt(0)
	v_add_f64 v[126:127], v[140:141], v[24:25]
	v_add_f64 v[4:5], v[167:168], -v[4:5]
	v_add_f64 v[244:245], v[226:227], v[232:233]
	v_add_f64 v[226:227], v[226:227], -v[232:233]
	v_add_f64 v[156:157], v[22:23], v[30:31]
	v_mul_f64 v[22:23], v[28:29], s[2:3]
	v_mul_f64 v[30:31], v[120:121], s[14:15]
	s_waitcnt vmcnt(0)
	v_add_f64 v[124:125], v[242:243], v[32:33]
	v_add_f64 v[120:121], v[158:159], -v[146:147]
	v_mul_f64 v[140:141], v[160:161], s[2:3]
	v_mul_f64 v[142:143], v[142:143], s[14:15]
	;; [unrolled: 1-line block ×3, first 2 shown]
	v_fma_f64 v[158:159], v[122:123], s[20:21], -v[202:203]
	v_fma_f64 v[166:167], v[122:123], s[6:7], v[200:201]
	v_fma_f64 v[122:123], v[144:145], s[16:17], -v[200:201]
	v_mul_f64 v[144:145], v[148:149], s[16:17]
	v_fma_f64 v[195:196], v[24:25], s[4:5], v[126:127]
	v_fma_f64 v[22:23], v[4:5], s[22:23], -v[22:23]
	v_fma_f64 v[4:5], v[4:5], s[18:19], -v[30:31]
	v_fma_f64 v[200:201], v[32:33], s[4:5], v[124:125]
	v_fma_f64 v[202:203], v[28:29], s[2:3], v[30:31]
	v_fma_f64 v[24:25], v[120:121], s[22:23], -v[140:141]
	v_fma_f64 v[32:33], v[120:121], s[18:19], -v[142:143]
	;; [unrolled: 1-line block ×3, first 2 shown]
	v_fma_f64 v[160:161], v[160:161], s[2:3], v[142:143]
	v_fma_f64 v[146:147], v[34:35], s[6:7], v[146:147]
	;; [unrolled: 1-line block ×3, first 2 shown]
	v_fma_f64 v[140:141], v[34:35], s[20:21], -v[144:145]
	v_fma_f64 v[144:145], v[154:155], s[0:1], v[158:159]
	v_mul_f64 v[142:143], v[0:1], v[169:170]
	v_fma_f64 v[154:155], v[154:155], s[0:1], v[166:167]
	v_add_f64 v[166:167], v[12:13], -v[214:215]
	v_add_f64 v[148:149], v[22:23], v[195:196]
	v_add_f64 v[4:5], v[4:5], v[195:196]
	;; [unrolled: 1-line block ×5, first 2 shown]
	v_fma_f64 v[120:121], v[156:157], s[0:1], v[120:121]
	v_add_f64 v[160:161], v[160:161], v[200:201]
	v_fma_f64 v[146:147], v[156:157], s[0:1], v[146:147]
	v_fma_f64 v[140:141], v[156:157], s[0:1], v[140:141]
	v_mul_f64 v[166:167], v[166:167], s[8:9]
	v_add_f64 v[30:31], v[144:145], v[148:149]
	v_add_f64 v[38:39], v[4:5], -v[122:123]
	v_add_f64 v[34:35], v[122:123], v[4:5]
	v_add_f64 v[4:5], v[210:211], -v[130:131]
	v_add_f64 v[130:131], v[210:211], v[130:131]
	v_fma_f64 v[209:210], v[252:253], v[2:3], v[142:143]
	v_add_f64 v[36:37], v[120:121], v[32:33]
	v_add_f64 v[32:33], v[32:33], -v[120:121]
	v_add_f64 v[122:123], v[148:149], -v[144:145]
	v_add_f64 v[148:149], v[212:213], v[20:21]
	v_add_f64 v[28:29], v[158:159], -v[140:141]
	v_add_f64 v[120:121], v[140:141], v[158:159]
	v_mul_f64 v[140:141], v[2:3], v[169:170]
	v_add_f64 v[168:169], v[216:217], v[218:219]
	v_add_f64 v[158:159], v[224:225], v[220:221]
	v_add_f64 v[20:21], v[212:213], -v[20:21]
	v_add_f64 v[211:212], v[224:225], -v[220:221]
	v_add_f64 v[213:214], v[214:215], -v[4:5]
	v_add_f64 v[12:13], v[4:5], -v[12:13]
	v_add_f64 v[4:5], v[4:5], v[222:223]
	v_add_f64 v[156:157], v[130:131], -v[238:239]
	v_fma_f64 v[204:205], v[252:253], v[0:1], -v[140:141]
	v_add_f64 v[142:143], v[130:131], v[168:169]
	ds_read2_b64 v[0:3], v255 offset0:174 offset1:223
	v_add_f64 v[140:141], v[148:149], v[158:159]
	v_add_f64 v[224:225], v[236:237], -v[158:159]
	v_add_f64 v[200:201], v[238:239], -v[168:169]
	s_waitcnt lgkmcnt(0)
	v_mul_f64 v[220:221], v[173:174], v[2:3]
	v_add_f64 v[218:219], v[238:239], v[142:143]
	ds_read2_b64 v[142:145], v254 offset0:92 offset1:141
	s_clause 0x3
	buffer_load_dword v22, off, s[28:31], 0 offset:392
	buffer_load_dword v23, off, s[28:31], 0 offset:396
	;; [unrolled: 1-line block ×4, first 2 shown]
	v_mul_f64 v[2:3], v[171:172], v[2:3]
	v_add_f64 v[216:217], v[236:237], v[140:141]
	v_add_f64 v[236:237], v[148:149], -v[236:237]
	v_mul_f64 v[222:223], v[224:225], s[14:15]
	v_add_f64 v[148:149], v[158:159], -v[148:149]
	v_mul_f64 v[10:11], v[189:190], v[0:1]
	v_mul_f64 v[0:1], v[187:188], v[0:1]
	;; [unrolled: 1-line block ×3, first 2 shown]
	s_waitcnt lgkmcnt(0)
	v_mul_f64 v[202:203], v[136:137], v[144:145]
	v_fma_f64 v[170:171], v[18:19], v[171:172], -v[220:221]
	v_mul_f64 v[144:145], v[134:135], v[144:145]
	v_mul_f64 v[220:221], v[213:214], s[16:17]
	v_fma_f64 v[18:19], v[18:19], v[173:174], v[2:3]
	v_add_f64 v[2:3], v[175:176], -v[211:212]
	v_add_f64 v[172:173], v[175:176], v[211:212]
	v_add_f64 v[211:212], v[211:212], -v[20:21]
	v_add_f64 v[140:141], v[138:139], v[216:217]
	;; [unrolled: 2-line block ×3, first 2 shown]
	v_mul_f64 v[158:159], v[236:237], s[2:3]
	v_fma_f64 v[236:237], v[236:237], s[2:3], v[222:223]
	v_mul_f64 v[232:233], v[193:194], v[142:143]
	v_mul_f64 v[142:143], v[191:192], v[142:143]
	v_add_f64 v[238:239], v[170:171], -v[228:229]
	v_add_f64 v[170:171], v[170:171], v[228:229]
	v_mul_f64 v[228:229], v[185:186], v[128:129]
	v_add_f64 v[224:225], v[18:19], v[230:231]
	v_mul_f64 v[128:129], v[183:184], v[128:129]
	v_add_f64 v[172:173], v[20:21], v[172:173]
	v_add_f64 v[20:21], v[168:169], -v[130:131]
	v_fma_f64 v[215:216], v[216:217], s[4:5], v[140:141]
	v_mul_f64 v[130:131], v[156:157], s[2:3]
	v_fma_f64 v[217:218], v[218:219], s[4:5], v[138:139]
	v_fma_f64 v[158:159], v[148:149], s[22:23], -v[158:159]
	v_fma_f64 v[148:149], v[148:149], s[18:19], -v[222:223]
	v_mul_f64 v[222:223], v[181:182], v[132:133]
	v_mul_f64 v[132:133], v[179:180], v[132:133]
	v_add_f64 v[168:169], v[248:249], v[234:235]
	v_fma_f64 v[156:157], v[156:157], s[2:3], v[200:201]
	v_fma_f64 v[183:184], v[8:9], v[183:184], -v[228:229]
	v_fma_f64 v[128:129], v[8:9], v[185:186], v[128:129]
	v_add_f64 v[185:186], v[204:205], v[162:163]
	v_fma_f64 v[200:201], v[20:21], s[18:19], -v[200:201]
	v_add_f64 v[162:163], v[204:205], -v[162:163]
	v_fma_f64 v[130:131], v[20:21], s[22:23], -v[130:131]
	v_add_f64 v[158:159], v[158:159], v[215:216]
	v_add_f64 v[148:149], v[148:149], v[215:216]
	v_fma_f64 v[179:180], v[14:15], v[179:180], -v[222:223]
	v_fma_f64 v[132:133], v[14:15], v[181:182], v[132:133]
	v_add_f64 v[156:157], v[156:157], v[217:218]
	v_add_f64 v[181:182], v[130:131], v[217:218]
	;; [unrolled: 1-line block ×3, first 2 shown]
	s_waitcnt vmcnt(0)
	v_fma_f64 v[134:135], v[24:25], v[134:135], -v[202:203]
	v_mul_f64 v[202:203], v[2:3], s[8:9]
	v_mul_f64 v[2:3], v[211:212], s[16:17]
	v_fma_f64 v[136:137], v[24:25], v[136:137], v[144:145]
	v_fma_f64 v[144:145], v[12:13], s[20:21], -v[220:221]
	v_fma_f64 v[220:221], v[12:13], s[6:7], v[166:167]
	v_add_f64 v[24:25], v[154:155], v[195:196]
	v_fma_f64 v[166:167], v[213:214], s[16:17], -v[166:167]
	v_mov_b32_e32 v6, v22
	v_mov_b32_e32 v7, v23
	v_add_f64 v[22:23], v[160:161], -v[146:147]
	v_fma_f64 v[191:192], v[6:7], v[191:192], -v[232:233]
	v_fma_f64 v[8:9], v[6:7], v[193:194], v[142:143]
	v_add_f64 v[213:214], v[134:135], -v[177:178]
	v_add_f64 v[134:135], v[134:135], v[177:178]
	v_fma_f64 v[240:241], v[174:175], s[20:21], -v[2:3]
	v_fma_f64 v[2:3], v[174:175], s[6:7], v[202:203]
	v_fma_f64 v[174:175], v[16:17], v[187:188], -v[10:11]
	v_fma_f64 v[187:188], v[16:17], v[189:190], v[0:1]
	v_add_f64 v[16:17], v[195:196], -v[154:155]
	v_fma_f64 v[195:196], v[4:5], s[0:1], v[220:221]
	v_add_f64 v[219:220], v[236:237], v[215:216]
	ds_read2_b64 v[10:13], v152 offset1:49
	v_add_f64 v[242:243], v[136:137], v[26:27]
	v_add_f64 v[189:190], v[168:169], v[224:225]
	v_fma_f64 v[202:203], v[211:212], s[16:17], -v[202:203]
	v_add_f64 v[221:222], v[209:210], v[164:165]
	v_add_f64 v[26:27], v[136:137], -v[26:27]
	v_add_f64 v[136:137], v[18:19], -v[230:231]
	;; [unrolled: 1-line block ×3, first 2 shown]
	v_fma_f64 v[166:167], v[4:5], s[0:1], v[166:167]
	v_add_f64 v[234:235], v[8:9], v[128:129]
	v_add_f64 v[8:9], v[8:9], -v[128:129]
	v_add_f64 v[164:165], v[209:210], -v[164:165]
	v_fma_f64 v[154:155], v[4:5], s[0:1], v[144:145]
	v_add_f64 v[246:247], v[213:214], -v[238:239]
	v_add_f64 v[211:212], v[226:227], -v[213:214]
	v_fma_f64 v[176:177], v[172:173], s[0:1], v[240:241]
	v_fma_f64 v[236:237], v[172:173], s[0:1], v[2:3]
	s_clause 0x4
	buffer_load_dword v0, off, s[28:31], 0 offset:408
	buffer_load_dword v1, off, s[28:31], 0 offset:412
	;; [unrolled: 1-line block ×5, first 2 shown]
	v_add_f64 v[228:229], v[187:188], v[132:133]
	v_add_f64 v[193:194], v[174:175], v[179:180]
	v_add_f64 v[174:175], v[174:175], -v[179:180]
	v_add_f64 v[213:214], v[213:214], v[238:239]
	v_add_f64 v[14:15], v[242:243], -v[224:225]
	v_add_f64 v[189:190], v[242:243], v[189:190]
	v_fma_f64 v[172:173], v[172:173], s[0:1], v[202:203]
	v_add_f64 v[187:188], v[187:188], -v[132:133]
	v_add_f64 v[232:233], v[134:135], v[130:131]
	v_add_f64 v[209:210], v[238:239], -v[226:227]
	v_add_f64 v[6:7], v[195:196], v[219:220]
	v_add_f64 v[130:131], v[148:149], -v[166:167]
	v_add_f64 v[253:254], v[164:165], -v[8:9]
	v_add_f64 v[20:21], v[154:155], v[158:159]
	v_mul_f64 v[215:216], v[246:247], s[8:9]
	v_add_f64 v[246:247], v[152:153], -v[26:27]
	v_add_f64 v[18:19], v[181:182], -v[176:177]
	;; [unrolled: 1-line block ×5, first 2 shown]
	v_add_f64 v[178:179], v[221:222], v[228:229]
	v_add_f64 v[240:241], v[185:186], v[193:194]
	v_add_f64 v[238:239], v[174:175], -v[162:163]
	v_add_f64 v[213:214], v[226:227], v[213:214]
	v_mul_f64 v[230:231], v[14:15], s[14:15]
	v_add_f64 v[14:15], v[146:147], v[160:161]
	v_add_f64 v[146:147], v[134:135], -v[170:171]
	v_add_f64 v[160:161], v[200:201], v[217:218]
	v_add_f64 v[217:218], v[191:192], -v[183:184]
	;; [unrolled: 2-line block ×3, first 2 shown]
	v_add_f64 v[26:27], v[26:27], v[136:137]
	s_waitcnt lgkmcnt(0)
	v_add_f64 v[144:145], v[12:13], v[189:190]
	v_add_f64 v[12:13], v[168:169], -v[242:243]
	v_add_f64 v[242:243], v[244:245], -v[134:135]
	v_add_f64 v[134:135], v[166:167], v[148:149]
	v_add_f64 v[136:137], v[136:137], -v[152:153]
	v_add_f64 v[168:169], v[224:225], -v[168:169]
	v_mul_f64 v[223:224], v[209:210], s[16:17]
	v_add_f64 v[170:171], v[170:171], -v[244:245]
	v_fma_f64 v[202:203], v[211:212], s[6:7], v[215:216]
	v_fma_f64 v[209:210], v[209:210], s[16:17], -v[215:216]
	v_add_f64 v[156:157], v[236:237], v[156:157]
	v_mul_f64 v[204:205], v[146:147], s[14:15]
	v_add_f64 v[128:129], v[172:173], v[160:161]
	v_add_f64 v[132:133], v[160:161], -v[172:173]
	v_add_f64 v[146:147], v[217:218], -v[174:175]
	v_add_f64 v[160:161], v[234:235], v[178:179]
	v_add_f64 v[166:167], v[183:184], v[240:241]
	v_add_f64 v[172:173], v[221:222], -v[234:235]
	v_add_f64 v[178:179], v[234:235], -v[228:229]
	;; [unrolled: 1-line block ×5, first 2 shown]
	v_add_f64 v[26:27], v[152:153], v[26:27]
	v_add_f64 v[152:153], v[187:188], -v[164:165]
	v_mul_f64 v[200:201], v[200:201], s[8:9]
	v_mul_f64 v[244:245], v[136:137], s[16:17]
	v_add_f64 v[174:175], v[217:218], v[174:175]
	v_add_f64 v[217:218], v[162:163], -v[217:218]
	v_add_f64 v[8:9], v[8:9], v[187:188]
	v_mul_f64 v[187:188], v[238:239], s[16:17]
	v_add_f64 v[221:222], v[228:229], -v[221:222]
	v_add_f64 v[185:186], v[193:194], -v[185:186]
	v_fma_f64 v[189:190], v[189:190], s[4:5], v[144:145]
	v_fma_f64 v[240:241], v[242:243], s[2:3], v[204:205]
	v_mul_f64 v[242:243], v[242:243], s[2:3]
	v_fma_f64 v[211:212], v[211:212], s[20:21], -v[223:224]
	v_mul_f64 v[251:252], v[146:147], s[8:9]
	v_add_f64 v[148:149], v[10:11], v[160:161]
	v_fma_f64 v[191:192], v[12:13], s[2:3], v[230:231]
	v_fma_f64 v[202:203], v[213:214], s[0:1], v[202:203]
	v_mul_f64 v[178:179], v[178:179], s[14:15]
	v_mul_f64 v[225:226], v[226:227], s[14:15]
	;; [unrolled: 1-line block ×4, first 2 shown]
	v_fma_f64 v[209:210], v[213:214], s[0:1], v[209:210]
	v_mul_f64 v[193:194], v[152:153], s[16:17]
	v_fma_f64 v[249:250], v[246:247], s[6:7], v[200:201]
	v_fma_f64 v[136:137], v[136:137], s[16:17], -v[200:201]
	v_add_f64 v[162:163], v[162:163], v[174:175]
	v_mov_b32_e32 v11, v151
	v_add_f64 v[8:9], v[164:165], v[8:9]
	v_fma_f64 v[164:165], v[217:218], s[20:21], -v[187:188]
	v_fma_f64 v[223:224], v[170:171], s[22:23], -v[242:243]
	;; [unrolled: 1-line block ×3, first 2 shown]
	v_fma_f64 v[200:201], v[217:218], s[6:7], v[251:252]
	v_fma_f64 v[160:161], v[160:161], s[4:5], v[148:149]
	v_fma_f64 v[170:171], v[170:171], s[18:19], -v[204:205]
	v_fma_f64 v[204:205], v[238:239], s[16:17], -v[251:252]
	v_fma_f64 v[211:212], v[213:214], s[0:1], v[211:212]
	v_fma_f64 v[174:175], v[183:184], s[2:3], v[225:226]
	;; [unrolled: 1-line block ×3, first 2 shown]
	v_fma_f64 v[187:188], v[185:186], s[22:23], -v[227:228]
	v_fma_f64 v[185:186], v[185:186], s[18:19], -v[225:226]
	;; [unrolled: 1-line block ×4, first 2 shown]
	v_add_f64 v[191:192], v[191:192], v[189:190]
	v_fma_f64 v[249:250], v[26:27], s[0:1], v[249:250]
	v_add_f64 v[152:153], v[176:177], v[181:182]
	v_fma_f64 v[204:205], v[162:163], s[0:1], v[204:205]
	v_fma_f64 v[227:228], v[8:9], s[0:1], v[183:184]
	v_add_f64 v[182:183], v[191:192], -v[202:203]
	s_waitcnt vmcnt(1)
	v_add_f64 v[142:143], v[2:3], v[232:233]
	v_mul_f64 v[2:3], v[12:13], s[2:3]
	v_add_f64 v[146:147], v[0:1], v[166:167]
	v_mul_f64 v[0:1], v[172:173], s[2:3]
	v_fma_f64 v[172:173], v[172:173], s[2:3], v[178:179]
	v_fma_f64 v[178:179], v[221:222], s[18:19], -v[178:179]
	s_waitcnt vmcnt(0)
	v_add_nc_u32_e32 v150, 49, v197
	v_add_nc_u32_e32 v12, 0xf5, v197
	v_mul_hi_u32 v196, 0xbf112a8b, v150
	v_mul_hi_u32 v13, 0xbf112a8b, v12
	v_lshrrev_b32_e32 v196, 8, v196
	v_fma_f64 v[232:233], v[232:233], s[4:5], v[142:143]
	v_fma_f64 v[2:3], v[168:169], s[22:23], -v[2:3]
	v_fma_f64 v[168:169], v[168:169], s[18:19], -v[230:231]
	;; [unrolled: 1-line block ×3, first 2 shown]
	v_fma_f64 v[166:167], v[166:167], s[4:5], v[146:147]
	v_fma_f64 v[221:222], v[26:27], s[0:1], v[242:243]
	;; [unrolled: 1-line block ×5, first 2 shown]
	v_add_f64 v[162:163], v[202:203], v[191:192]
	v_add_f64 v[240:241], v[240:241], v[232:233]
	;; [unrolled: 1-line block ×7, first 2 shown]
	v_fma_f64 v[231:232], v[8:9], s[0:1], v[193:194]
	v_add_f64 v[233:234], v[178:179], v[160:161]
	v_add_f64 v[238:239], v[185:186], v[166:167]
	v_fma_f64 v[8:9], v[8:9], s[0:1], v[215:216]
	v_add_f64 v[225:226], v[174:175], v[166:167]
	v_add_f64 v[229:230], v[187:188], v[166:167]
	;; [unrolled: 1-line block ×5, first 2 shown]
	v_add_f64 v[178:179], v[2:3], -v[211:212]
	v_mul_hi_u32 v2, 0xbf112a8b, v197
	v_add_f64 v[170:171], v[189:190], -v[209:210]
	v_add_f64 v[174:175], v[209:210], v[189:190]
	v_add_f64 v[190:191], v[200:201], v[0:1]
	v_add_f64 v[200:201], v[0:1], -v[200:201]
	v_lshlrev_b64 v[0:1], 4, v[207:208]
	v_add_f64 v[194:195], v[233:234], -v[204:205]
	v_add_f64 v[192:193], v[8:9], v[238:239]
	v_lshrrev_b32_e32 v2, 8, v2
	v_add_f64 v[205:206], v[204:205], v[233:234]
	v_add_f64 v[203:204], v[238:239], -v[8:9]
	v_add_co_u32 v0, vcc_lo, s10, v0
	v_mul_u32_u24_e32 v2, 0x157, v2
	v_add_co_ci_u32_e32 v1, vcc_lo, s11, v1, vcc_lo
	v_add_f64 v[209:210], v[223:224], -v[136:137]
	v_add_f64 v[207:208], v[227:228], v[225:226]
	v_sub_nc_u32_e32 v8, v197, v2
	v_lshlrev_b64 v[2:3], 4, v[198:199]
	v_add_f64 v[198:199], v[231:232], v[229:230]
	v_add_f64 v[168:169], v[26:27], v[213:214]
	v_add_f64 v[172:173], v[213:214], -v[26:27]
	v_lshlrev_b32_e32 v8, 4, v8
	v_add_f64 v[186:187], v[136:137], v[223:224]
	v_add_co_u32 v0, vcc_lo, v0, v2
	v_add_co_ci_u32_e32 v1, vcc_lo, v1, v3, vcc_lo
	v_add_f64 v[188:189], v[229:230], -v[231:232]
	v_add_co_u32 v2, vcc_lo, v0, v8
	v_add_co_ci_u32_e32 v3, vcc_lo, 0, v1, vcc_lo
	v_add_f64 v[184:185], v[225:226], -v[227:228]
	v_add_co_u32 v8, vcc_lo, 0x1000, v2
	v_add_co_ci_u32_e32 v9, vcc_lo, 0, v3, vcc_lo
	v_add_co_u32 v26, vcc_lo, 0x2800, v2
	v_add_co_ci_u32_e32 v27, vcc_lo, 0, v3, vcc_lo
	v_add_co_u32 v136, vcc_lo, 0x4000, v2
	v_add_co_ci_u32_e32 v137, vcc_lo, 0, v3, vcc_lo
	global_store_dwordx4 v[2:3], v[146:149], off
	global_store_dwordx4 v[8:9], v[207:210], off offset:1392
	global_store_dwordx4 v[26:27], v[198:201], off offset:736
	;; [unrolled: 1-line block ×3, first 2 shown]
	v_mul_u32_u24_e32 v26, 0x157, v196
	v_add_co_u32 v8, vcc_lo, 0x5000, v2
	v_add_co_ci_u32_e32 v9, vcc_lo, 0, v3, vcc_lo
	v_sub_nc_u32_e32 v136, v150, v26
	v_add_co_u32 v26, vcc_lo, 0x6800, v2
	v_add_co_ci_u32_e32 v27, vcc_lo, 0, v3, vcc_lo
	v_mad_u32_u24 v150, 0x961, v196, v136
	v_add_co_u32 v2, vcc_lo, 0x8000, v2
	v_add_f64 v[176:177], v[221:222], v[217:218]
	v_add_co_ci_u32_e32 v3, vcc_lo, 0, v3, vcc_lo
	v_add_nc_u32_e32 v136, 0x157, v150
	v_mov_b32_e32 v137, v151
	global_store_dwordx4 v[8:9], v[192:195], off offset:1472
	global_store_dwordx4 v[26:27], v[188:191], off offset:816
	v_lshlrev_b64 v[8:9], 4, v[150:151]
	v_add_nc_u32_e32 v26, 0x2ae, v150
	v_mov_b32_e32 v27, v151
	v_add_nc_u32_e32 v148, 0x62, v197
	global_store_dwordx4 v[2:3], v[184:187], off offset:160
	v_lshlrev_b64 v[2:3], 4, v[136:137]
	v_add_co_u32 v8, vcc_lo, v0, v8
	v_lshlrev_b64 v[26:27], 4, v[26:27]
	v_mul_hi_u32 v149, 0xbf112a8b, v148
	v_add_co_ci_u32_e32 v9, vcc_lo, v1, v9, vcc_lo
	v_add_co_u32 v2, vcc_lo, v0, v2
	v_add_nc_u32_e32 v136, 0x405, v150
	v_add_co_ci_u32_e32 v3, vcc_lo, v1, v3, vcc_lo
	v_add_co_u32 v26, vcc_lo, v0, v26
	v_add_nc_u32_e32 v146, 0x55c, v150
	v_mov_b32_e32 v147, v151
	v_add_co_ci_u32_e32 v27, vcc_lo, v1, v27, vcc_lo
	global_store_dwordx4 v[8:9], v[142:145], off
	v_lshlrev_b64 v[8:9], 4, v[136:137]
	v_lshrrev_b32_e32 v136, 8, v149
	global_store_dwordx4 v[2:3], v[180:183], off
	global_store_dwordx4 v[26:27], v[176:179], off
	v_lshlrev_b64 v[2:3], 4, v[146:147]
	v_add_nc_u32_e32 v26, 0x6b3, v150
	v_mov_b32_e32 v27, v151
	v_mul_u32_u24_e32 v137, 0x157, v136
	v_add_co_u32 v8, vcc_lo, v0, v8
	v_add_co_ci_u32_e32 v9, vcc_lo, v1, v9, vcc_lo
	v_add_co_u32 v2, vcc_lo, v0, v2
	v_add_nc_u32_e32 v150, 0x80a, v150
	v_sub_nc_u32_e32 v137, v148, v137
	v_add_co_ci_u32_e32 v3, vcc_lo, v1, v3, vcc_lo
	v_add_f64 v[164:165], v[217:218], -v[221:222]
	v_add_f64 v[160:161], v[240:241], -v[249:250]
	v_lshlrev_b64 v[26:27], 4, v[26:27]
	global_store_dwordx4 v[8:9], v[172:175], off
	global_store_dwordx4 v[2:3], v[168:171], off
	v_lshlrev_b64 v[2:3], 4, v[150:151]
	v_mad_u32_u24 v150, 0x961, v136, v137
	v_mov_b32_e32 v137, v151
	v_mov_b32_e32 v143, v151
	v_add_co_u32 v8, vcc_lo, v0, v26
	v_add_nc_u32_e32 v136, 0x157, v150
	v_add_co_ci_u32_e32 v9, vcc_lo, v1, v27, vcc_lo
	v_lshlrev_b64 v[26:27], 4, v[150:151]
	v_add_co_u32 v2, vcc_lo, v0, v2
	v_lshlrev_b64 v[136:137], 4, v[136:137]
	v_add_co_ci_u32_e32 v3, vcc_lo, v1, v3, vcc_lo
	v_add_co_u32 v26, vcc_lo, v0, v26
	v_add_co_ci_u32_e32 v27, vcc_lo, v1, v27, vcc_lo
	v_add_co_u32 v136, vcc_lo, v0, v136
	v_add_co_ci_u32_e32 v137, vcc_lo, v1, v137, vcc_lo
	global_store_dwordx4 v[8:9], v[164:167], off
	global_store_dwordx4 v[2:3], v[160:163], off
	;; [unrolled: 1-line block ×4, first 2 shown]
	v_add_nc_u32_e32 v138, 0x93, v197
	v_add_nc_u32_e32 v142, 0x2ae, v150
	;; [unrolled: 1-line block ×3, first 2 shown]
	v_mov_b32_e32 v9, v151
	v_add_nc_u32_e32 v26, 0x55c, v150
	v_mul_hi_u32 v139, 0xbf112a8b, v138
	v_lshlrev_b64 v[2:3], 4, v[142:143]
	v_mov_b32_e32 v27, v151
	v_lshlrev_b64 v[8:9], 4, v[8:9]
	v_add_nc_u32_e32 v136, 0x6b3, v150
	v_mov_b32_e32 v137, v151
	v_add_nc_u32_e32 v150, 0x80a, v150
	v_add_co_u32 v2, vcc_lo, v0, v2
	v_lshrrev_b32_e32 v140, 8, v139
	v_lshlrev_b64 v[26:27], 4, v[26:27]
	v_add_co_ci_u32_e32 v3, vcc_lo, v1, v3, vcc_lo
	v_add_co_u32 v8, vcc_lo, v0, v8
	v_mul_u32_u24_e32 v139, 0x157, v140
	v_lshlrev_b64 v[136:137], 4, v[136:137]
	v_add_co_ci_u32_e32 v9, vcc_lo, v1, v9, vcc_lo
	v_add_co_u32 v26, vcc_lo, v0, v26
	v_sub_nc_u32_e32 v141, v138, v139
	v_add_co_ci_u32_e32 v27, vcc_lo, v1, v27, vcc_lo
	v_lshlrev_b64 v[138:139], 4, v[150:151]
	v_add_co_u32 v136, vcc_lo, v0, v136
	v_mad_u32_u24 v150, 0x961, v140, v141
	v_add_co_ci_u32_e32 v137, vcc_lo, v1, v137, vcc_lo
	global_store_dwordx4 v[2:3], v[152:155], off
	global_store_dwordx4 v[8:9], v[132:135], off
	;; [unrolled: 1-line block ×4, first 2 shown]
	v_mov_b32_e32 v9, v151
	v_add_nc_u32_e32 v8, 0x157, v150
	v_lshlrev_b64 v[2:3], 4, v[150:151]
	v_add_co_u32 v18, vcc_lo, v0, v138
	v_add_co_ci_u32_e32 v19, vcc_lo, v1, v139, vcc_lo
	v_lshlrev_b64 v[8:9], 4, v[8:9]
	v_add_co_u32 v2, vcc_lo, v0, v2
	v_add_co_ci_u32_e32 v3, vcc_lo, v1, v3, vcc_lo
	v_add_nc_u32_e32 v20, 0x2ae, v150
	v_add_co_u32 v8, vcc_lo, v0, v8
	v_add_co_ci_u32_e32 v9, vcc_lo, v1, v9, vcc_lo
	v_mov_b32_e32 v21, v151
	v_add_nc_u32_e32 v26, 0x405, v150
	v_mov_b32_e32 v27, v151
	global_store_dwordx4 v[18:19], v[4:7], off
	global_store_dwordx4 v[2:3], v[124:127], off
	;; [unrolled: 1-line block ×3, first 2 shown]
	v_add_nc_u32_e32 v14, 0xc4, v197
	v_lshlrev_b64 v[4:5], 4, v[20:21]
	v_lshlrev_b64 v[2:3], 4, v[26:27]
	v_add_nc_u32_e32 v6, 0x55c, v150
	v_mov_b32_e32 v7, v151
	v_mul_hi_u32 v15, 0xbf112a8b, v14
	v_add_nc_u32_e32 v8, 0x6b3, v150
	v_add_co_u32 v4, vcc_lo, v0, v4
	v_add_co_ci_u32_e32 v5, vcc_lo, v1, v5, vcc_lo
	v_add_co_u32 v2, vcc_lo, v0, v2
	v_add_co_ci_u32_e32 v3, vcc_lo, v1, v3, vcc_lo
	v_mov_b32_e32 v9, v151
	v_lshrrev_b32_e32 v15, 8, v15
	global_store_dwordx4 v[4:5], v[120:123], off
	v_lshlrev_b64 v[4:5], 4, v[6:7]
	global_store_dwordx4 v[2:3], v[32:35], off
	v_lshlrev_b64 v[2:3], 4, v[8:9]
	v_add_nc_u32_e32 v150, 0x80a, v150
	v_mul_u32_u24_e32 v8, 0x157, v15
	v_add_co_u32 v4, vcc_lo, v0, v4
	v_lshlrev_b64 v[6:7], 4, v[150:151]
	v_sub_nc_u32_e32 v8, v14, v8
	v_add_co_ci_u32_e32 v5, vcc_lo, v1, v5, vcc_lo
	v_add_co_u32 v2, vcc_lo, v0, v2
	v_add_co_ci_u32_e32 v3, vcc_lo, v1, v3, vcc_lo
	v_mad_u32_u24 v150, 0x961, v15, v8
	v_add_co_u32 v6, vcc_lo, v0, v6
	v_add_co_ci_u32_e32 v7, vcc_lo, v1, v7, vcc_lo
	v_add_nc_u32_e32 v8, 0x157, v150
	global_store_dwordx4 v[4:5], v[36:39], off
	global_store_dwordx4 v[2:3], v[28:31], off
	v_lshlrev_b64 v[2:3], 4, v[150:151]
	global_store_dwordx4 v[6:7], v[22:25], off
	v_add_nc_u32_e32 v6, 0x2ae, v150
	v_mov_b32_e32 v7, v151
	v_lshlrev_b64 v[4:5], 4, v[8:9]
	v_add_nc_u32_e32 v8, 0x405, v150
	v_add_co_u32 v2, vcc_lo, v0, v2
	v_lshlrev_b64 v[6:7], 4, v[6:7]
	v_add_co_ci_u32_e32 v3, vcc_lo, v1, v3, vcc_lo
	v_add_co_u32 v4, vcc_lo, v0, v4
	v_add_co_ci_u32_e32 v5, vcc_lo, v1, v5, vcc_lo
	v_add_co_u32 v6, vcc_lo, v0, v6
	v_add_nc_u32_e32 v10, 0x55c, v150
	v_add_co_ci_u32_e32 v7, vcc_lo, v1, v7, vcc_lo
	global_store_dwordx4 v[2:3], v[88:91], off
	v_lshlrev_b64 v[2:3], 4, v[8:9]
	v_lshrrev_b32_e32 v8, 8, v13
	global_store_dwordx4 v[4:5], v[116:119], off
	global_store_dwordx4 v[6:7], v[112:115], off
	v_lshlrev_b64 v[4:5], 4, v[10:11]
	v_add_nc_u32_e32 v6, 0x6b3, v150
	v_mov_b32_e32 v7, v151
	v_mul_u32_u24_e32 v9, 0x157, v8
	v_add_co_u32 v2, vcc_lo, v0, v2
	v_add_co_ci_u32_e32 v3, vcc_lo, v1, v3, vcc_lo
	v_add_co_u32 v4, vcc_lo, v0, v4
	v_add_nc_u32_e32 v150, 0x80a, v150
	v_sub_nc_u32_e32 v9, v12, v9
	v_add_co_ci_u32_e32 v5, vcc_lo, v1, v5, vcc_lo
	v_lshlrev_b64 v[6:7], 4, v[6:7]
	global_store_dwordx4 v[2:3], v[108:111], off
	global_store_dwordx4 v[4:5], v[104:107], off
	v_lshlrev_b64 v[2:3], 4, v[150:151]
	v_mad_u32_u24 v150, 0x961, v8, v9
	v_mov_b32_e32 v9, v151
	v_add_co_u32 v4, vcc_lo, v0, v6
	v_add_co_ci_u32_e32 v5, vcc_lo, v1, v7, vcc_lo
	v_add_nc_u32_e32 v8, 0x157, v150
	v_lshlrev_b64 v[6:7], 4, v[150:151]
	v_add_co_u32 v2, vcc_lo, v0, v2
	v_add_co_ci_u32_e32 v3, vcc_lo, v1, v3, vcc_lo
	v_lshlrev_b64 v[8:9], 4, v[8:9]
	v_add_co_u32 v6, vcc_lo, v0, v6
	v_add_co_ci_u32_e32 v7, vcc_lo, v1, v7, vcc_lo
	v_add_nc_u32_e32 v10, 0x2ae, v150
	v_add_co_u32 v8, vcc_lo, v0, v8
	v_add_co_ci_u32_e32 v9, vcc_lo, v1, v9, vcc_lo
	global_store_dwordx4 v[4:5], v[96:99], off
	global_store_dwordx4 v[2:3], v[100:103], off
	;; [unrolled: 1-line block ×4, first 2 shown]
	v_lshlrev_b64 v[2:3], 4, v[10:11]
	v_add_nc_u32_e32 v10, 0x126, v197
	v_add_nc_u32_e32 v4, 0x405, v150
	v_mov_b32_e32 v5, v151
	v_add_nc_u32_e32 v6, 0x55c, v150
	v_mov_b32_e32 v7, v151
	v_mul_hi_u32 v11, 0xbf112a8b, v10
	v_add_nc_u32_e32 v8, 0x6b3, v150
	v_lshlrev_b64 v[4:5], 4, v[4:5]
	v_mov_b32_e32 v9, v151
	v_add_co_u32 v2, vcc_lo, v0, v2
	v_lshlrev_b64 v[6:7], 4, v[6:7]
	v_add_co_ci_u32_e32 v3, vcc_lo, v1, v3, vcc_lo
	v_lshrrev_b32_e32 v12, 8, v11
	v_add_co_u32 v4, vcc_lo, v0, v4
	v_lshlrev_b64 v[8:9], 4, v[8:9]
	v_add_nc_u32_e32 v150, 0x80a, v150
	v_mul_u32_u24_e32 v11, 0x157, v12
	v_add_co_ci_u32_e32 v5, vcc_lo, v1, v5, vcc_lo
	v_add_co_u32 v6, vcc_lo, v0, v6
	v_sub_nc_u32_e32 v13, v10, v11
	v_add_co_ci_u32_e32 v7, vcc_lo, v1, v7, vcc_lo
	v_lshlrev_b64 v[10:11], 4, v[150:151]
	v_add_co_u32 v8, vcc_lo, v0, v8
	v_mad_u32_u24 v150, 0x961, v12, v13
	v_add_co_ci_u32_e32 v9, vcc_lo, v1, v9, vcc_lo
	global_store_dwordx4 v[2:3], v[84:87], off
	global_store_dwordx4 v[4:5], v[80:83], off
	;; [unrolled: 1-line block ×4, first 2 shown]
	v_mov_b32_e32 v5, v151
	v_add_nc_u32_e32 v4, 0x157, v150
	v_lshlrev_b64 v[2:3], 4, v[150:151]
	v_add_co_u32 v6, vcc_lo, v0, v10
	v_add_co_ci_u32_e32 v7, vcc_lo, v1, v11, vcc_lo
	v_lshlrev_b64 v[4:5], 4, v[4:5]
	v_add_co_u32 v2, vcc_lo, v0, v2
	v_add_co_ci_u32_e32 v3, vcc_lo, v1, v3, vcc_lo
	v_add_nc_u32_e32 v8, 0x2ae, v150
	v_mov_b32_e32 v9, v151
	v_add_co_u32 v4, vcc_lo, v0, v4
	v_add_co_ci_u32_e32 v5, vcc_lo, v1, v5, vcc_lo
	v_add_nc_u32_e32 v10, 0x405, v150
	v_mov_b32_e32 v11, v151
	global_store_dwordx4 v[6:7], v[64:67], off
	global_store_dwordx4 v[2:3], v[52:55], off
	v_lshlrev_b64 v[2:3], 4, v[8:9]
	v_add_nc_u32_e32 v6, 0x55c, v150
	v_mov_b32_e32 v7, v151
	global_store_dwordx4 v[4:5], v[60:63], off
	v_lshlrev_b64 v[4:5], 4, v[10:11]
	v_add_nc_u32_e32 v8, 0x6b3, v150
	v_add_co_u32 v2, vcc_lo, v0, v2
	v_lshlrev_b64 v[6:7], 4, v[6:7]
	v_add_co_ci_u32_e32 v3, vcc_lo, v1, v3, vcc_lo
	v_add_co_u32 v4, vcc_lo, v0, v4
	v_lshlrev_b64 v[8:9], 4, v[8:9]
	v_add_co_ci_u32_e32 v5, vcc_lo, v1, v5, vcc_lo
	v_add_co_u32 v6, vcc_lo, v0, v6
	v_add_co_ci_u32_e32 v7, vcc_lo, v1, v7, vcc_lo
	v_add_co_u32 v8, vcc_lo, v0, v8
	v_add_co_ci_u32_e32 v9, vcc_lo, v1, v9, vcc_lo
	global_store_dwordx4 v[2:3], v[56:59], off
	global_store_dwordx4 v[4:5], v[48:51], off
	global_store_dwordx4 v[6:7], v[40:43], off
	global_store_dwordx4 v[8:9], v[44:47], off
	s_clause 0x3
	buffer_load_dword v2, off, s[28:31], 0
	buffer_load_dword v3, off, s[28:31], 0 offset:4
	buffer_load_dword v4, off, s[28:31], 0 offset:8
	;; [unrolled: 1-line block ×3, first 2 shown]
	v_add_nc_u32_e32 v150, 0x80a, v150
	v_lshlrev_b64 v[10:11], 4, v[150:151]
	v_add_co_u32 v0, vcc_lo, v0, v10
	v_add_co_ci_u32_e32 v1, vcc_lo, v1, v11, vcc_lo
	s_waitcnt vmcnt(0)
	global_store_dwordx4 v[0:1], v[2:5], off
.LBB0_15:
	s_endpgm
	.section	.rodata,"a",@progbits
	.p2align	6, 0x0
	.amdhsa_kernel fft_rtc_fwd_len2401_factors_7_7_7_7_wgs_49_tpt_49_halfLds_dp_op_CI_CI_unitstride_sbrr_dirReg
		.amdhsa_group_segment_fixed_size 0
		.amdhsa_private_segment_fixed_size 548
		.amdhsa_kernarg_size 104
		.amdhsa_user_sgpr_count 6
		.amdhsa_user_sgpr_private_segment_buffer 1
		.amdhsa_user_sgpr_dispatch_ptr 0
		.amdhsa_user_sgpr_queue_ptr 0
		.amdhsa_user_sgpr_kernarg_segment_ptr 1
		.amdhsa_user_sgpr_dispatch_id 0
		.amdhsa_user_sgpr_flat_scratch_init 0
		.amdhsa_user_sgpr_private_segment_size 0
		.amdhsa_wavefront_size32 1
		.amdhsa_uses_dynamic_stack 0
		.amdhsa_system_sgpr_private_segment_wavefront_offset 1
		.amdhsa_system_sgpr_workgroup_id_x 1
		.amdhsa_system_sgpr_workgroup_id_y 0
		.amdhsa_system_sgpr_workgroup_id_z 0
		.amdhsa_system_sgpr_workgroup_info 0
		.amdhsa_system_vgpr_workitem_id 0
		.amdhsa_next_free_vgpr 256
		.amdhsa_next_free_sgpr 32
		.amdhsa_reserve_vcc 1
		.amdhsa_reserve_flat_scratch 0
		.amdhsa_float_round_mode_32 0
		.amdhsa_float_round_mode_16_64 0
		.amdhsa_float_denorm_mode_32 3
		.amdhsa_float_denorm_mode_16_64 3
		.amdhsa_dx10_clamp 1
		.amdhsa_ieee_mode 1
		.amdhsa_fp16_overflow 0
		.amdhsa_workgroup_processor_mode 1
		.amdhsa_memory_ordered 1
		.amdhsa_forward_progress 0
		.amdhsa_shared_vgpr_count 0
		.amdhsa_exception_fp_ieee_invalid_op 0
		.amdhsa_exception_fp_denorm_src 0
		.amdhsa_exception_fp_ieee_div_zero 0
		.amdhsa_exception_fp_ieee_overflow 0
		.amdhsa_exception_fp_ieee_underflow 0
		.amdhsa_exception_fp_ieee_inexact 0
		.amdhsa_exception_int_div_zero 0
	.end_amdhsa_kernel
	.text
.Lfunc_end0:
	.size	fft_rtc_fwd_len2401_factors_7_7_7_7_wgs_49_tpt_49_halfLds_dp_op_CI_CI_unitstride_sbrr_dirReg, .Lfunc_end0-fft_rtc_fwd_len2401_factors_7_7_7_7_wgs_49_tpt_49_halfLds_dp_op_CI_CI_unitstride_sbrr_dirReg
                                        ; -- End function
	.section	.AMDGPU.csdata,"",@progbits
; Kernel info:
; codeLenInByte = 37764
; NumSgprs: 34
; NumVgprs: 256
; ScratchSize: 548
; MemoryBound: 1
; FloatMode: 240
; IeeeMode: 1
; LDSByteSize: 0 bytes/workgroup (compile time only)
; SGPRBlocks: 4
; VGPRBlocks: 31
; NumSGPRsForWavesPerEU: 34
; NumVGPRsForWavesPerEU: 256
; Occupancy: 4
; WaveLimiterHint : 1
; COMPUTE_PGM_RSRC2:SCRATCH_EN: 1
; COMPUTE_PGM_RSRC2:USER_SGPR: 6
; COMPUTE_PGM_RSRC2:TRAP_HANDLER: 0
; COMPUTE_PGM_RSRC2:TGID_X_EN: 1
; COMPUTE_PGM_RSRC2:TGID_Y_EN: 0
; COMPUTE_PGM_RSRC2:TGID_Z_EN: 0
; COMPUTE_PGM_RSRC2:TIDIG_COMP_CNT: 0
	.text
	.p2alignl 6, 3214868480
	.fill 48, 4, 3214868480
	.type	__hip_cuid_74c09f99a1b7904b,@object ; @__hip_cuid_74c09f99a1b7904b
	.section	.bss,"aw",@nobits
	.globl	__hip_cuid_74c09f99a1b7904b
__hip_cuid_74c09f99a1b7904b:
	.byte	0                               ; 0x0
	.size	__hip_cuid_74c09f99a1b7904b, 1

	.ident	"AMD clang version 19.0.0git (https://github.com/RadeonOpenCompute/llvm-project roc-6.4.0 25133 c7fe45cf4b819c5991fe208aaa96edf142730f1d)"
	.section	".note.GNU-stack","",@progbits
	.addrsig
	.addrsig_sym __hip_cuid_74c09f99a1b7904b
	.amdgpu_metadata
---
amdhsa.kernels:
  - .args:
      - .actual_access:  read_only
        .address_space:  global
        .offset:         0
        .size:           8
        .value_kind:     global_buffer
      - .offset:         8
        .size:           8
        .value_kind:     by_value
      - .actual_access:  read_only
        .address_space:  global
        .offset:         16
        .size:           8
        .value_kind:     global_buffer
      - .actual_access:  read_only
        .address_space:  global
        .offset:         24
        .size:           8
        .value_kind:     global_buffer
      - .actual_access:  read_only
        .address_space:  global
        .offset:         32
        .size:           8
        .value_kind:     global_buffer
      - .offset:         40
        .size:           8
        .value_kind:     by_value
      - .actual_access:  read_only
        .address_space:  global
        .offset:         48
        .size:           8
        .value_kind:     global_buffer
      - .actual_access:  read_only
        .address_space:  global
        .offset:         56
        .size:           8
        .value_kind:     global_buffer
      - .offset:         64
        .size:           4
        .value_kind:     by_value
      - .actual_access:  read_only
        .address_space:  global
        .offset:         72
        .size:           8
        .value_kind:     global_buffer
      - .actual_access:  read_only
        .address_space:  global
        .offset:         80
        .size:           8
        .value_kind:     global_buffer
      - .actual_access:  read_only
        .address_space:  global
        .offset:         88
        .size:           8
        .value_kind:     global_buffer
      - .actual_access:  write_only
        .address_space:  global
        .offset:         96
        .size:           8
        .value_kind:     global_buffer
    .group_segment_fixed_size: 0
    .kernarg_segment_align: 8
    .kernarg_segment_size: 104
    .language:       OpenCL C
    .language_version:
      - 2
      - 0
    .max_flat_workgroup_size: 49
    .name:           fft_rtc_fwd_len2401_factors_7_7_7_7_wgs_49_tpt_49_halfLds_dp_op_CI_CI_unitstride_sbrr_dirReg
    .private_segment_fixed_size: 548
    .sgpr_count:     34
    .sgpr_spill_count: 0
    .symbol:         fft_rtc_fwd_len2401_factors_7_7_7_7_wgs_49_tpt_49_halfLds_dp_op_CI_CI_unitstride_sbrr_dirReg.kd
    .uniform_work_group_size: 1
    .uses_dynamic_stack: false
    .vgpr_count:     256
    .vgpr_spill_count: 223
    .wavefront_size: 32
    .workgroup_processor_mode: 1
amdhsa.target:   amdgcn-amd-amdhsa--gfx1030
amdhsa.version:
  - 1
  - 2
...

	.end_amdgpu_metadata
